;; amdgpu-corpus repo=ROCm/rocFFT kind=compiled arch=gfx1030 opt=O3
	.text
	.amdgcn_target "amdgcn-amd-amdhsa--gfx1030"
	.amdhsa_code_object_version 6
	.protected	fft_rtc_fwd_len150_factors_10_5_3_wgs_60_tpt_5_halfLds_sp_ip_CI_sbrr_dirReg ; -- Begin function fft_rtc_fwd_len150_factors_10_5_3_wgs_60_tpt_5_halfLds_sp_ip_CI_sbrr_dirReg
	.globl	fft_rtc_fwd_len150_factors_10_5_3_wgs_60_tpt_5_halfLds_sp_ip_CI_sbrr_dirReg
	.p2align	8
	.type	fft_rtc_fwd_len150_factors_10_5_3_wgs_60_tpt_5_halfLds_sp_ip_CI_sbrr_dirReg,@function
fft_rtc_fwd_len150_factors_10_5_3_wgs_60_tpt_5_halfLds_sp_ip_CI_sbrr_dirReg: ; @fft_rtc_fwd_len150_factors_10_5_3_wgs_60_tpt_5_halfLds_sp_ip_CI_sbrr_dirReg
; %bb.0:
	s_clause 0x1
	s_load_dwordx2 s[14:15], s[4:5], 0x18
	s_load_dwordx4 s[8:11], s[4:5], 0x0
	v_mul_u32_u24_e32 v1, 0x3334, v0
	v_mov_b32_e32 v5, 0
	v_mov_b32_e32 v3, 0
	v_mov_b32_e32 v4, 0
	s_load_dwordx2 s[12:13], s[4:5], 0x50
	s_waitcnt lgkmcnt(0)
	s_load_dwordx2 s[2:3], s[14:15], 0x0
	v_lshrrev_b32_e32 v1, 16, v1
	v_cmp_lt_u64_e64 s0, s[10:11], 2
	v_mad_u64_u32 v[1:2], null, s6, 12, v[1:2]
	v_mov_b32_e32 v2, v5
	s_and_b32 vcc_lo, exec_lo, s0
	v_mov_b32_e32 v10, v2
	v_mov_b32_e32 v9, v1
	s_cbranch_vccnz .LBB0_8
; %bb.1:
	s_load_dwordx2 s[0:1], s[4:5], 0x10
	v_mov_b32_e32 v3, 0
	v_mov_b32_e32 v8, v2
	s_add_u32 s6, s14, 8
	v_mov_b32_e32 v4, 0
	v_mov_b32_e32 v7, v1
	s_addc_u32 s7, s15, 0
	s_mov_b64 s[18:19], 1
	s_waitcnt lgkmcnt(0)
	s_add_u32 s16, s0, 8
	s_addc_u32 s17, s1, 0
.LBB0_2:                                ; =>This Inner Loop Header: Depth=1
	s_load_dwordx2 s[20:21], s[16:17], 0x0
                                        ; implicit-def: $vgpr9_vgpr10
	s_mov_b32 s0, exec_lo
	s_waitcnt lgkmcnt(0)
	v_or_b32_e32 v6, s21, v8
	v_cmpx_ne_u64_e32 0, v[5:6]
	s_xor_b32 s1, exec_lo, s0
	s_cbranch_execz .LBB0_4
; %bb.3:                                ;   in Loop: Header=BB0_2 Depth=1
	v_cvt_f32_u32_e32 v2, s20
	v_cvt_f32_u32_e32 v6, s21
	s_sub_u32 s0, 0, s20
	s_subb_u32 s22, 0, s21
	v_fmac_f32_e32 v2, 0x4f800000, v6
	v_rcp_f32_e32 v2, v2
	v_mul_f32_e32 v2, 0x5f7ffffc, v2
	v_mul_f32_e32 v6, 0x2f800000, v2
	v_trunc_f32_e32 v6, v6
	v_fmac_f32_e32 v2, 0xcf800000, v6
	v_cvt_u32_f32_e32 v6, v6
	v_cvt_u32_f32_e32 v2, v2
	v_mul_lo_u32 v9, s0, v6
	v_mul_hi_u32 v10, s0, v2
	v_mul_lo_u32 v11, s22, v2
	v_add_nc_u32_e32 v9, v10, v9
	v_mul_lo_u32 v10, s0, v2
	v_add_nc_u32_e32 v9, v9, v11
	v_mul_hi_u32 v11, v2, v10
	v_mul_lo_u32 v12, v2, v9
	v_mul_hi_u32 v13, v2, v9
	v_mul_hi_u32 v14, v6, v10
	v_mul_lo_u32 v10, v6, v10
	v_mul_hi_u32 v15, v6, v9
	v_mul_lo_u32 v9, v6, v9
	v_add_co_u32 v11, vcc_lo, v11, v12
	v_add_co_ci_u32_e32 v12, vcc_lo, 0, v13, vcc_lo
	v_add_co_u32 v10, vcc_lo, v11, v10
	v_add_co_ci_u32_e32 v10, vcc_lo, v12, v14, vcc_lo
	v_add_co_ci_u32_e32 v11, vcc_lo, 0, v15, vcc_lo
	v_add_co_u32 v9, vcc_lo, v10, v9
	v_add_co_ci_u32_e32 v10, vcc_lo, 0, v11, vcc_lo
	v_add_co_u32 v2, vcc_lo, v2, v9
	v_add_co_ci_u32_e32 v6, vcc_lo, v6, v10, vcc_lo
	v_mul_hi_u32 v9, s0, v2
	v_mul_lo_u32 v11, s22, v2
	v_mul_lo_u32 v10, s0, v6
	v_add_nc_u32_e32 v9, v9, v10
	v_mul_lo_u32 v10, s0, v2
	v_add_nc_u32_e32 v9, v9, v11
	v_mul_hi_u32 v11, v2, v10
	v_mul_lo_u32 v12, v2, v9
	v_mul_hi_u32 v13, v2, v9
	v_mul_hi_u32 v14, v6, v10
	v_mul_lo_u32 v10, v6, v10
	v_mul_hi_u32 v15, v6, v9
	v_mul_lo_u32 v9, v6, v9
	v_add_co_u32 v11, vcc_lo, v11, v12
	v_add_co_ci_u32_e32 v12, vcc_lo, 0, v13, vcc_lo
	v_add_co_u32 v10, vcc_lo, v11, v10
	v_add_co_ci_u32_e32 v10, vcc_lo, v12, v14, vcc_lo
	v_add_co_ci_u32_e32 v11, vcc_lo, 0, v15, vcc_lo
	v_add_co_u32 v9, vcc_lo, v10, v9
	v_add_co_ci_u32_e32 v10, vcc_lo, 0, v11, vcc_lo
	v_add_co_u32 v2, vcc_lo, v2, v9
	v_add_co_ci_u32_e32 v6, vcc_lo, v6, v10, vcc_lo
	v_mul_hi_u32 v15, v7, v2
	v_mad_u64_u32 v[11:12], null, v8, v2, 0
	v_mad_u64_u32 v[9:10], null, v7, v6, 0
	v_mad_u64_u32 v[13:14], null, v8, v6, 0
	v_add_co_u32 v2, vcc_lo, v15, v9
	v_add_co_ci_u32_e32 v6, vcc_lo, 0, v10, vcc_lo
	v_add_co_u32 v2, vcc_lo, v2, v11
	v_add_co_ci_u32_e32 v2, vcc_lo, v6, v12, vcc_lo
	v_add_co_ci_u32_e32 v6, vcc_lo, 0, v14, vcc_lo
	v_add_co_u32 v2, vcc_lo, v2, v13
	v_add_co_ci_u32_e32 v6, vcc_lo, 0, v6, vcc_lo
	v_mul_lo_u32 v11, s21, v2
	v_mad_u64_u32 v[9:10], null, s20, v2, 0
	v_mul_lo_u32 v12, s20, v6
	v_sub_co_u32 v9, vcc_lo, v7, v9
	v_add3_u32 v10, v10, v12, v11
	v_sub_nc_u32_e32 v11, v8, v10
	v_subrev_co_ci_u32_e64 v11, s0, s21, v11, vcc_lo
	v_add_co_u32 v12, s0, v2, 2
	v_add_co_ci_u32_e64 v13, s0, 0, v6, s0
	v_sub_co_u32 v14, s0, v9, s20
	v_sub_co_ci_u32_e32 v10, vcc_lo, v8, v10, vcc_lo
	v_subrev_co_ci_u32_e64 v11, s0, 0, v11, s0
	v_cmp_le_u32_e32 vcc_lo, s20, v14
	v_cmp_eq_u32_e64 s0, s21, v10
	v_cndmask_b32_e64 v14, 0, -1, vcc_lo
	v_cmp_le_u32_e32 vcc_lo, s21, v11
	v_cndmask_b32_e64 v15, 0, -1, vcc_lo
	v_cmp_le_u32_e32 vcc_lo, s20, v9
	;; [unrolled: 2-line block ×3, first 2 shown]
	v_cndmask_b32_e64 v16, 0, -1, vcc_lo
	v_cmp_eq_u32_e32 vcc_lo, s21, v11
	v_cndmask_b32_e64 v9, v16, v9, s0
	v_cndmask_b32_e32 v11, v15, v14, vcc_lo
	v_add_co_u32 v14, vcc_lo, v2, 1
	v_add_co_ci_u32_e32 v15, vcc_lo, 0, v6, vcc_lo
	v_cmp_ne_u32_e32 vcc_lo, 0, v11
	v_cndmask_b32_e32 v10, v15, v13, vcc_lo
	v_cndmask_b32_e32 v11, v14, v12, vcc_lo
	v_cmp_ne_u32_e32 vcc_lo, 0, v9
	v_cndmask_b32_e32 v10, v6, v10, vcc_lo
	v_cndmask_b32_e32 v9, v2, v11, vcc_lo
.LBB0_4:                                ;   in Loop: Header=BB0_2 Depth=1
	s_andn2_saveexec_b32 s0, s1
	s_cbranch_execz .LBB0_6
; %bb.5:                                ;   in Loop: Header=BB0_2 Depth=1
	v_cvt_f32_u32_e32 v2, s20
	s_sub_i32 s1, 0, s20
	v_rcp_iflag_f32_e32 v2, v2
	v_mul_f32_e32 v2, 0x4f7ffffe, v2
	v_cvt_u32_f32_e32 v2, v2
	v_mul_lo_u32 v6, s1, v2
	v_mul_hi_u32 v6, v2, v6
	v_add_nc_u32_e32 v2, v2, v6
	v_mul_hi_u32 v2, v7, v2
	v_mul_lo_u32 v6, v2, s20
	v_add_nc_u32_e32 v9, 1, v2
	v_sub_nc_u32_e32 v6, v7, v6
	v_subrev_nc_u32_e32 v10, s20, v6
	v_cmp_le_u32_e32 vcc_lo, s20, v6
	v_cndmask_b32_e32 v6, v6, v10, vcc_lo
	v_cndmask_b32_e32 v2, v2, v9, vcc_lo
	v_mov_b32_e32 v10, v5
	v_cmp_le_u32_e32 vcc_lo, s20, v6
	v_add_nc_u32_e32 v9, 1, v2
	v_cndmask_b32_e32 v9, v2, v9, vcc_lo
.LBB0_6:                                ;   in Loop: Header=BB0_2 Depth=1
	s_or_b32 exec_lo, exec_lo, s0
	s_load_dwordx2 s[0:1], s[6:7], 0x0
	v_mul_lo_u32 v2, v10, s20
	v_mul_lo_u32 v6, v9, s21
	v_mad_u64_u32 v[11:12], null, v9, s20, 0
	s_add_u32 s18, s18, 1
	s_addc_u32 s19, s19, 0
	s_add_u32 s6, s6, 8
	s_addc_u32 s7, s7, 0
	s_add_u32 s16, s16, 8
	s_addc_u32 s17, s17, 0
	v_add3_u32 v2, v12, v6, v2
	v_sub_co_u32 v6, vcc_lo, v7, v11
	v_sub_co_ci_u32_e32 v2, vcc_lo, v8, v2, vcc_lo
	s_waitcnt lgkmcnt(0)
	v_mul_lo_u32 v7, s1, v6
	v_mul_lo_u32 v2, s0, v2
	v_mad_u64_u32 v[3:4], null, s0, v6, v[3:4]
	v_cmp_ge_u64_e64 s0, s[18:19], s[10:11]
	s_and_b32 vcc_lo, exec_lo, s0
	v_add3_u32 v4, v7, v4, v2
	s_cbranch_vccnz .LBB0_8
; %bb.7:                                ;   in Loop: Header=BB0_2 Depth=1
	v_mov_b32_e32 v7, v9
	v_mov_b32_e32 v8, v10
	s_branch .LBB0_2
.LBB0_8:
	s_lshl_b64 s[0:1], s[10:11], 3
	v_mul_hi_u32 v2, 0x33333334, v0
	s_add_u32 s0, s14, s0
	s_addc_u32 s1, s15, s1
	s_load_dwordx2 s[4:5], s[4:5], 0x20
	s_load_dwordx2 s[0:1], s[0:1], 0x0
                                        ; implicit-def: $vgpr89
                                        ; implicit-def: $vgpr90
                                        ; implicit-def: $vgpr94
                                        ; implicit-def: $vgpr95
                                        ; implicit-def: $vgpr96
                                        ; implicit-def: $vgpr91
                                        ; implicit-def: $vgpr97
                                        ; implicit-def: $vgpr92
                                        ; implicit-def: $vgpr93
	v_mul_u32_u24_e32 v2, 5, v2
	v_sub_nc_u32_e32 v82, v0, v2
	v_add_nc_u32_e32 v81, 5, v82
	v_add_nc_u32_e32 v80, 10, v82
	;; [unrolled: 1-line block ×4, first 2 shown]
	v_or_b32_e32 v65, 40, v82
	s_waitcnt lgkmcnt(0)
	v_cmp_gt_u64_e32 vcc_lo, s[4:5], v[9:10]
	v_mul_lo_u32 v0, s0, v10
	v_mul_lo_u32 v5, s1, v9
	v_mad_u64_u32 v[2:3], null, s0, v9, v[3:4]
	v_cmp_le_u64_e64 s0, s[4:5], v[9:10]
	v_add_nc_u32_e32 v76, 15, v82
	v_add_nc_u32_e32 v64, 45, v82
	;; [unrolled: 1-line block ×4, first 2 shown]
	v_or_b32_e32 v88, 0x50, v82
	v_add3_u32 v3, v5, v3, v0
	s_and_saveexec_b32 s1, s0
	s_xor_b32 s0, exec_lo, s1
; %bb.9:
	v_add_nc_u32_e32 v89, 5, v82
	v_add_nc_u32_e32 v90, 10, v82
	v_add_nc_u32_e32 v94, 30, v82
	v_add_nc_u32_e32 v95, 35, v82
	v_or_b32_e32 v96, 40, v82
	v_add_nc_u32_e32 v91, 15, v82
	v_add_nc_u32_e32 v97, 45, v82
	;; [unrolled: 1-line block ×4, first 2 shown]
	v_or_b32_e32 v88, 0x50, v82
; %bb.10:
	s_or_saveexec_b32 s1, s0
	v_lshlrev_b64 v[20:21], 3, v[2:3]
	v_add_nc_u32_e32 v83, 60, v82
	v_add_nc_u32_e32 v67, 0x5a, v82
	;; [unrolled: 1-line block ×3, first 2 shown]
	v_or_b32_e32 v74, 0x78, v82
	v_add_nc_u32_e32 v69, 0x87, v82
	v_add_nc_u32_e32 v85, 50, v82
	v_add_nc_u32_e32 v78, 0x41, v82
	v_add_nc_u32_e32 v79, 0x6e, v82
	v_add_nc_u32_e32 v66, 0x8c, v82
	v_add_nc_u32_e32 v86, 55, v82
	v_add_nc_u32_e32 v75, 0x46, v82
	v_add_nc_u32_e32 v70, 0x55, v82
	v_add_nc_u32_e32 v87, 0x64, v82
	v_add_nc_u32_e32 v77, 0x73, v82
                                        ; implicit-def: $vgpr7
                                        ; implicit-def: $vgpr17
                                        ; implicit-def: $vgpr9
                                        ; implicit-def: $vgpr15
                                        ; implicit-def: $vgpr13
                                        ; implicit-def: $vgpr23
                                        ; implicit-def: $vgpr11
                                        ; implicit-def: $vgpr19
                                        ; implicit-def: $vgpr5
                                        ; implicit-def: $vgpr3
                                        ; implicit-def: $vgpr35
                                        ; implicit-def: $vgpr57
                                        ; implicit-def: $vgpr37
                                        ; implicit-def: $vgpr55
                                        ; implicit-def: $vgpr43
                                        ; implicit-def: $vgpr61
                                        ; implicit-def: $vgpr41
                                        ; implicit-def: $vgpr59
                                        ; implicit-def: $vgpr27
                                        ; implicit-def: $vgpr25
                                        ; implicit-def: $vgpr31
                                        ; implicit-def: $vgpr49
                                        ; implicit-def: $vgpr33
                                        ; implicit-def: $vgpr47
                                        ; implicit-def: $vgpr45
                                        ; implicit-def: $vgpr53
                                        ; implicit-def: $vgpr39
                                        ; implicit-def: $vgpr51
                                        ; implicit-def: $vgpr29
                                        ; implicit-def: $vgpr63
	s_xor_b32 exec_lo, exec_lo, s1
	s_cbranch_execz .LBB0_12
; %bb.11:
	v_mad_u64_u32 v[2:3], null, s2, v82, 0
	v_mad_u64_u32 v[5:6], null, s2, v76, 0
	;; [unrolled: 1-line block ×3, first 2 shown]
	v_add_nc_u32_e32 v18, 0x4b, v82
	v_mad_u64_u32 v[22:23], null, s2, v84, 0
	v_mov_b32_e32 v0, v3
	v_mov_b32_e32 v3, v6
	v_mad_u64_u32 v[34:35], null, s2, v85, 0
	v_add_nc_u32_e32 v44, 0x5f, v82
	v_mad_u64_u32 v[9:10], null, s3, v82, v[0:1]
	v_mad_u64_u32 v[10:11], null, s2, v64, 0
	v_mov_b32_e32 v0, v8
	v_mad_u64_u32 v[12:13], null, s3, v76, v[3:4]
	v_add_nc_u32_e32 v46, 0x7d, v82
	v_mov_b32_e32 v3, v9
	v_mad_u64_u32 v[13:14], null, s3, v71, v[0:1]
	v_mov_b32_e32 v9, v11
	v_mad_u64_u32 v[14:15], null, s2, v83, 0
	v_mov_b32_e32 v6, v12
	v_lshlrev_b64 v[2:3], 3, v[2:3]
	v_mad_u64_u32 v[11:12], null, s3, v64, v[9:10]
	v_mov_b32_e32 v8, v13
	v_mad_u64_u32 v[12:13], null, s2, v18, 0
	v_mov_b32_e32 v9, v15
	v_add_co_u32 v0, s0, s12, v20
	v_add_co_ci_u32_e64 v4, s0, s13, v21, s0
	v_mad_u64_u32 v[15:16], null, s3, v83, v[9:10]
	v_lshlrev_b64 v[9:10], 3, v[10:11]
	v_mov_b32_e32 v11, v13
	v_mad_u64_u32 v[16:17], null, s2, v67, 0
	v_lshlrev_b64 v[5:6], 3, v[5:6]
	v_add_co_u32 v2, s0, v0, v2
	v_mad_u64_u32 v[18:19], null, s3, v18, v[11:12]
	v_lshlrev_b64 v[7:8], 3, v[7:8]
	v_add_co_ci_u32_e64 v3, s0, v4, v3, s0
	v_add_co_u32 v5, s0, v0, v5
	v_mov_b32_e32 v11, v17
	v_add_co_ci_u32_e64 v6, s0, v4, v6, s0
	v_add_co_u32 v7, s0, v0, v7
	v_lshlrev_b64 v[14:15], 3, v[14:15]
	v_mov_b32_e32 v13, v18
	v_add_co_ci_u32_e64 v8, s0, v4, v8, s0
	v_add_co_u32 v9, s0, v0, v9
	v_mad_u64_u32 v[24:25], null, s3, v67, v[11:12]
	v_add_co_ci_u32_e64 v10, s0, v4, v10, s0
	v_add_co_u32 v14, s0, v0, v14
	v_lshlrev_b64 v[11:12], 3, v[12:13]
	v_mov_b32_e32 v13, v23
	v_mad_u64_u32 v[18:19], null, s2, v74, 0
	v_mov_b32_e32 v17, v24
	v_add_co_ci_u32_e64 v15, s0, v4, v15, s0
	v_mad_u64_u32 v[23:24], null, s3, v84, v[13:14]
	v_mad_u64_u32 v[24:25], null, s2, v69, 0
	v_mov_b32_e32 v13, v19
	v_lshlrev_b64 v[16:17], 3, v[16:17]
	v_add_co_u32 v11, s0, v0, v11
	v_lshlrev_b64 v[22:23], 3, v[22:23]
	v_mad_u64_u32 v[26:27], null, s3, v74, v[13:14]
	v_mov_b32_e32 v13, v25
	v_mad_u64_u32 v[27:28], null, s2, v81, 0
	v_add_co_ci_u32_e64 v12, s0, v4, v12, s0
	v_mad_u64_u32 v[29:30], null, s3, v69, v[13:14]
	v_mov_b32_e32 v19, v26
	v_add_co_u32 v16, s0, v0, v16
	v_mov_b32_e32 v13, v28
	v_add_co_ci_u32_e64 v17, s0, v4, v17, s0
	v_mov_b32_e32 v25, v29
	v_mad_u64_u32 v[29:30], null, s2, v73, 0
	v_mad_u64_u32 v[31:32], null, s3, v81, v[13:14]
	;; [unrolled: 1-line block ×3, first 2 shown]
	v_lshlrev_b64 v[18:19], 3, v[18:19]
	v_add_co_u32 v22, s0, v0, v22
	v_mov_b32_e32 v13, v30
	v_mov_b32_e32 v28, v31
	v_lshlrev_b64 v[24:25], 3, v[24:25]
	v_add_co_ci_u32_e64 v23, s0, v4, v23, s0
	v_mad_u64_u32 v[30:31], null, s3, v73, v[13:14]
	v_mov_b32_e32 v13, v33
	v_add_co_u32 v18, s0, v0, v18
	v_lshlrev_b64 v[26:27], 3, v[27:28]
	v_add_co_ci_u32_e64 v19, s0, v4, v19, s0
	v_mad_u64_u32 v[36:37], null, s3, v68, v[13:14]
	v_add_co_u32 v24, s0, v0, v24
	v_lshlrev_b64 v[28:29], 3, v[29:30]
	v_mov_b32_e32 v13, v35
	v_add_co_ci_u32_e64 v25, s0, v4, v25, s0
	v_mad_u64_u32 v[30:31], null, s2, v78, 0
	v_add_co_u32 v26, s0, v0, v26
	v_mov_b32_e32 v33, v36
	v_add_co_ci_u32_e64 v27, s0, v4, v27, s0
	v_mad_u64_u32 v[35:36], null, s3, v85, v[13:14]
	v_add_co_u32 v36, s0, v0, v28
	v_add_co_ci_u32_e64 v37, s0, v4, v29, s0
	v_lshlrev_b64 v[28:29], 3, v[32:33]
	v_mad_u64_u32 v[32:33], null, s2, v88, 0
	v_mov_b32_e32 v13, v31
	v_add_nc_u32_e32 v49, 0x91, v82
	v_add_co_u32 v40, s0, v0, v28
	v_mad_u64_u32 v[38:39], null, s3, v78, v[13:14]
	v_mov_b32_e32 v13, v33
	v_add_co_ci_u32_e64 v41, s0, v4, v29, s0
	v_lshlrev_b64 v[28:29], 3, v[34:35]
	v_mad_u64_u32 v[33:34], null, s3, v88, v[13:14]
	v_mad_u64_u32 v[34:35], null, s2, v44, 0
	v_mov_b32_e32 v31, v38
	v_add_co_u32 v42, s0, v0, v28
	v_add_co_ci_u32_e64 v43, s0, v4, v29, s0
	v_lshlrev_b64 v[28:29], 3, v[30:31]
	v_mad_u64_u32 v[30:31], null, s2, v79, 0
	v_mov_b32_e32 v13, v35
	v_mad_u64_u32 v[38:39], null, s2, v46, 0
	v_add_co_u32 v54, s0, v0, v28
	v_mad_u64_u32 v[44:45], null, s3, v44, v[13:14]
	v_mov_b32_e32 v13, v31
	v_add_co_ci_u32_e64 v55, s0, v4, v29, s0
	v_lshlrev_b64 v[28:29], 3, v[32:33]
	v_mov_b32_e32 v31, v39
	v_mad_u64_u32 v[32:33], null, s3, v79, v[13:14]
	v_mov_b32_e32 v35, v44
	v_mad_u64_u32 v[44:45], null, s2, v66, 0
	v_add_co_u32 v56, s0, v0, v28
	v_add_co_ci_u32_e64 v57, s0, v4, v29, s0
	v_mad_u64_u32 v[46:47], null, s3, v46, v[31:32]
	v_mad_u64_u32 v[47:48], null, s2, v80, 0
	v_mov_b32_e32 v13, v45
	v_lshlrev_b64 v[28:29], 3, v[34:35]
	v_mov_b32_e32 v31, v32
	v_mov_b32_e32 v39, v46
	v_mad_u64_u32 v[32:33], null, s3, v66, v[13:14]
	v_mad_u64_u32 v[33:34], null, s2, v72, 0
	v_mov_b32_e32 v13, v48
	v_add_co_u32 v89, s0, v0, v28
	v_add_co_ci_u32_e64 v90, s0, v4, v29, s0
	v_lshlrev_b64 v[28:29], 3, v[30:31]
	v_mad_u64_u32 v[30:31], null, s3, v80, v[13:14]
	v_mov_b32_e32 v13, v34
	v_mov_b32_e32 v45, v32
	v_mad_u64_u32 v[31:32], null, s2, v65, 0
	v_lshlrev_b64 v[38:39], 3, v[38:39]
	v_add_co_u32 v91, s0, v0, v28
	v_add_co_ci_u32_e64 v92, s0, v4, v29, s0
	v_mad_u64_u32 v[28:29], null, s3, v72, v[13:14]
	v_mov_b32_e32 v48, v30
	v_lshlrev_b64 v[29:30], 3, v[44:45]
	v_add_co_u32 v93, s0, v0, v38
	v_mov_b32_e32 v13, v32
	v_add_co_ci_u32_e64 v94, s0, v4, v39, s0
	v_lshlrev_b64 v[38:39], 3, v[47:48]
	v_mov_b32_e32 v34, v28
	v_add_co_u32 v95, s0, v0, v29
	v_mad_u64_u32 v[28:29], null, s2, v86, 0
	v_mad_u64_u32 v[44:45], null, s3, v65, v[13:14]
	v_add_co_ci_u32_e64 v96, s0, v4, v30, s0
	v_add_co_u32 v97, s0, v0, v38
	v_add_co_ci_u32_e64 v98, s0, v4, v39, s0
	v_mad_u64_u32 v[38:39], null, s2, v75, 0
	v_lshlrev_b64 v[33:34], 3, v[33:34]
	v_mov_b32_e32 v13, v29
	v_mov_b32_e32 v32, v44
	v_mad_u64_u32 v[47:48], null, s2, v49, 0
	v_mad_u64_u32 v[29:30], null, s3, v86, v[13:14]
	v_add_co_u32 v99, s0, v0, v33
	v_mov_b32_e32 v13, v39
	v_lshlrev_b64 v[30:31], 3, v[31:32]
	v_mad_u64_u32 v[32:33], null, s2, v70, 0
	v_add_co_ci_u32_e64 v100, s0, v4, v34, s0
	v_mad_u64_u32 v[34:35], null, s3, v75, v[13:14]
	v_add_co_u32 v101, s0, v0, v30
	v_mov_b32_e32 v13, v33
	v_add_co_ci_u32_e64 v102, s0, v4, v31, s0
	v_mad_u64_u32 v[30:31], null, s2, v87, 0
	v_mov_b32_e32 v39, v34
	v_mad_u64_u32 v[33:34], null, s3, v70, v[13:14]
	v_lshlrev_b64 v[28:29], 3, v[28:29]
	v_mad_u64_u32 v[34:35], null, s2, v77, 0
	v_mov_b32_e32 v13, v31
	v_add_co_u32 v103, s0, v0, v28
	v_add_co_ci_u32_e64 v104, s0, v4, v29, s0
	v_lshlrev_b64 v[28:29], 3, v[38:39]
	v_mov_b32_e32 v31, v35
	v_mad_u64_u32 v[38:39], null, s3, v87, v[13:14]
	v_add_nc_u32_e32 v39, 0x82, v82
	v_mad_u64_u32 v[44:45], null, s3, v77, v[31:32]
	v_add_co_u32 v105, s0, v0, v28
	v_mad_u64_u32 v[45:46], null, s2, v39, 0
	v_add_co_ci_u32_e64 v106, s0, v4, v29, s0
	v_lshlrev_b64 v[28:29], 3, v[32:33]
	v_mov_b32_e32 v32, v48
	v_mov_b32_e32 v31, v38
	;; [unrolled: 1-line block ×4, first 2 shown]
	v_mad_u64_u32 v[32:33], null, s3, v49, v[32:33]
	v_lshlrev_b64 v[30:31], 3, v[30:31]
	v_mad_u64_u32 v[38:39], null, s3, v39, v[13:14]
	v_add_co_u32 v107, s0, v0, v28
	v_add_co_ci_u32_e64 v108, s0, v4, v29, s0
	v_lshlrev_b64 v[28:29], 3, v[34:35]
	v_add_co_u32 v109, s0, v0, v30
	v_mov_b32_e32 v46, v38
	v_mov_b32_e32 v48, v32
	v_add_co_ci_u32_e64 v110, s0, v4, v31, s0
	v_add_co_u32 v111, s0, v0, v28
	v_lshlrev_b64 v[30:31], 3, v[45:46]
	v_add_co_ci_u32_e64 v112, s0, v4, v29, s0
	v_lshlrev_b64 v[28:29], 3, v[47:48]
	v_add_co_u32 v113, s0, v0, v30
	v_add_co_ci_u32_e64 v114, s0, v4, v31, s0
	v_add_co_u32 v115, s0, v0, v28
	v_add_co_ci_u32_e64 v116, s0, v4, v29, s0
	s_clause 0x1d
	global_load_dwordx2 v[62:63], v[2:3], off
	global_load_dwordx2 v[28:29], v[5:6], off
	;; [unrolled: 1-line block ×30, first 2 shown]
	v_mov_b32_e32 v93, v72
	v_mov_b32_e32 v92, v73
	;; [unrolled: 1-line block ×9, first 2 shown]
.LBB0_12:
	s_or_b32 exec_lo, exec_lo, s1
	v_mul_hi_u32 v0, 0xaaaaaaab, v1
	s_waitcnt vmcnt(27)
	v_add_f32_e32 v98, v50, v62
	s_waitcnt vmcnt(23)
	v_add_f32_e32 v99, v46, v52
	s_waitcnt vmcnt(21)
	v_sub_f32_e32 v100, v51, v49
	v_add_f32_e32 v104, v48, v50
	v_sub_f32_e32 v101, v53, v47
	v_add_f32_e32 v98, v52, v98
	v_fma_f32 v99, -0.5, v99, v62
	v_lshrrev_b32_e32 v0, 3, v0
	v_sub_f32_e32 v102, v50, v52
	v_sub_f32_e32 v103, v48, v46
	v_add_f32_e32 v107, v51, v63
	v_fmamk_f32 v108, v100, 0x3f737871, v99
	v_mul_lo_u32 v0, v0, 12
	v_fmac_f32_e32 v62, -0.5, v104
	v_add_f32_e32 v98, v46, v98
	v_fmac_f32_e32 v99, 0xbf737871, v100
	v_sub_f32_e32 v105, v52, v50
	v_sub_f32_e32 v106, v46, v48
	v_add_f32_e32 v102, v103, v102
	v_fmac_f32_e32 v108, 0x3f167918, v101
	v_sub_nc_u32_e32 v0, v1, v0
	v_fmamk_f32 v1, v101, 0xbf737871, v62
	v_add_f32_e32 v103, v48, v98
	v_fmac_f32_e32 v99, 0xbf167918, v101
	v_fmac_f32_e32 v62, 0x3f737871, v101
	v_mul_u32_u24_e32 v98, 0x96, v0
	v_add_f32_e32 v0, v47, v53
	v_add_f32_e32 v101, v53, v107
	;; [unrolled: 1-line block ×3, first 2 shown]
	v_fmac_f32_e32 v108, 0x3e9e377a, v102
	v_fmac_f32_e32 v1, 0x3f167918, v100
	v_fma_f32 v105, -0.5, v0, v63
	v_sub_f32_e32 v0, v50, v48
	v_add_f32_e32 v48, v47, v101
	v_add_f32_e32 v50, v49, v51
	v_fmac_f32_e32 v99, 0x3e9e377a, v102
	v_fmac_f32_e32 v62, 0xbf167918, v100
	v_fmamk_f32 v100, v0, 0xbf737871, v105
	v_sub_f32_e32 v46, v52, v46
	v_sub_f32_e32 v52, v51, v53
	;; [unrolled: 1-line block ×3, first 2 shown]
	v_fmac_f32_e32 v63, -0.5, v50
	v_add_f32_e32 v102, v49, v48
	v_fmac_f32_e32 v105, 0x3f737871, v0
	v_sub_f32_e32 v50, v53, v51
	v_sub_f32_e32 v47, v47, v49
	v_add_f32_e32 v49, v32, v44
	v_fmac_f32_e32 v100, 0xbf167918, v46
	v_add_f32_e32 v48, v101, v52
	v_fmamk_f32 v101, v46, 0x3f737871, v63
	v_fmac_f32_e32 v105, 0x3f167918, v46
	v_add_f32_e32 v47, v47, v50
	v_fmac_f32_e32 v63, 0xbf737871, v46
	v_add_f32_e32 v46, v38, v28
	v_fma_f32 v49, -0.5, v49, v28
	s_waitcnt vmcnt(20)
	v_sub_f32_e32 v50, v39, v31
	v_fmac_f32_e32 v100, 0x3e9e377a, v48
	v_fmac_f32_e32 v101, 0xbf167918, v0
	;; [unrolled: 1-line block ×4, first 2 shown]
	v_add_f32_e32 v0, v44, v46
	v_fmamk_f32 v48, v50, 0x3f737871, v49
	v_sub_f32_e32 v46, v45, v33
	v_sub_f32_e32 v51, v38, v44
	;; [unrolled: 1-line block ×3, first 2 shown]
	v_fmac_f32_e32 v49, 0xbf737871, v50
	v_add_f32_e32 v53, v30, v38
	v_fmac_f32_e32 v101, 0x3e9e377a, v47
	v_fmac_f32_e32 v48, 0x3f167918, v46
	v_add_f32_e32 v51, v52, v51
	v_fmac_f32_e32 v49, 0xbf167918, v46
	v_fmac_f32_e32 v28, -0.5, v53
	v_fmac_f32_e32 v63, 0x3e9e377a, v47
	v_add_f32_e32 v47, v33, v45
	v_fmac_f32_e32 v1, 0x3e9e377a, v104
	v_fmac_f32_e32 v62, 0x3e9e377a, v104
	v_add_f32_e32 v0, v32, v0
	v_fmac_f32_e32 v48, 0x3e9e377a, v51
	v_fmac_f32_e32 v49, 0x3e9e377a, v51
	v_fmamk_f32 v51, v46, 0xbf737871, v28
	v_sub_f32_e32 v52, v44, v38
	v_sub_f32_e32 v53, v32, v30
	v_fmac_f32_e32 v28, 0x3f737871, v46
	v_fma_f32 v104, -0.5, v47, v29
	v_add_f32_e32 v47, v31, v39
	v_add_f32_e32 v0, v30, v0
	v_fmac_f32_e32 v51, 0x3f167918, v50
	v_sub_f32_e32 v30, v38, v30
	v_add_f32_e32 v38, v53, v52
	v_fmac_f32_e32 v28, 0xbf167918, v50
	v_add_f32_e32 v46, v39, v29
	v_sub_f32_e32 v32, v44, v32
	v_fmac_f32_e32 v29, -0.5, v47
	v_fmamk_f32 v50, v30, 0xbf737871, v104
	v_fmac_f32_e32 v51, 0x3e9e377a, v38
	v_fmac_f32_e32 v28, 0x3e9e377a, v38
	v_add_f32_e32 v38, v45, v46
	v_sub_f32_e32 v44, v39, v45
	v_sub_f32_e32 v46, v31, v33
	v_fmamk_f32 v52, v32, 0x3f737871, v29
	v_fmac_f32_e32 v29, 0xbf737871, v32
	v_fmac_f32_e32 v104, 0x3f737871, v30
	v_sub_f32_e32 v39, v45, v39
	v_sub_f32_e32 v45, v33, v31
	v_add_f32_e32 v44, v46, v44
	v_fmac_f32_e32 v52, 0xbf167918, v30
	v_fmac_f32_e32 v29, 0x3f167918, v30
	v_add_f32_e32 v30, v33, v38
	v_fmac_f32_e32 v104, 0x3f167918, v32
	v_add_f32_e32 v39, v45, v39
	v_fmac_f32_e32 v50, 0xbf167918, v32
	v_mul_f32_e32 v32, 0x3e9e377a, v28
	v_add_f32_e32 v106, v31, v30
	v_fmac_f32_e32 v104, 0x3e9e377a, v44
	v_mul_f32_e32 v30, 0x3f4f1bbd, v49
	v_fmac_f32_e32 v52, 0x3e9e377a, v39
	v_fmac_f32_e32 v29, 0x3e9e377a, v39
	v_mul_f32_e32 v39, 0x3e9e377a, v51
	v_fmac_f32_e32 v50, 0x3e9e377a, v44
	v_fma_f32 v107, 0x3f167918, v104, -v30
	v_mul_f32_e32 v30, 0x3f4f1bbd, v104
	v_mul_f32_e32 v38, 0x3f4f1bbd, v48
	v_fmac_f32_e32 v39, 0x3f737871, v52
	v_fma_f32 v53, 0x3f737871, v29, -v32
	v_add_f32_e32 v44, v0, v103
	v_mul_f32_e32 v109, 0xbf167918, v48
	v_mul_f32_e32 v110, 0xbf737871, v51
	v_mul_f32_e32 v29, 0x3e9e377a, v29
	v_fma_f32 v111, 0xbf167918, v49, -v30
	v_sub_f32_e32 v49, v103, v0
	s_waitcnt vmcnt(13)
	v_add_f32_e32 v0, v54, v60
	v_fmac_f32_e32 v38, 0x3f167918, v50
	v_add_f32_e32 v46, v1, v39
	v_add_f32_e32 v47, v62, v53
	;; [unrolled: 1-line block ×3, first 2 shown]
	v_fmac_f32_e32 v109, 0x3f4f1bbd, v50
	v_fmac_f32_e32 v110, 0x3e9e377a, v52
	v_fma_f32 v104, 0xbf737871, v28, -v29
	v_add_f32_e32 v30, v106, v102
	v_sub_f32_e32 v51, v1, v39
	v_sub_f32_e32 v52, v62, v53
	;; [unrolled: 1-line block ×3, first 2 shown]
	v_add_f32_e32 v1, v58, v24
	v_fma_f32 v62, -0.5, v0, v24
	s_waitcnt vmcnt(11)
	v_sub_f32_e32 v99, v59, v57
	v_sub_f32_e32 v29, v102, v106
	v_add_f32_e32 v106, v56, v58
	v_add_f32_e32 v45, v108, v38
	;; [unrolled: 1-line block ×4, first 2 shown]
	v_sub_f32_e32 v50, v108, v38
	v_sub_f32_e32 v38, v100, v109
	;; [unrolled: 1-line block ×3, first 2 shown]
	v_add_f32_e32 v1, v60, v1
	v_fmamk_f32 v100, v99, 0x3f737871, v62
	v_sub_f32_e32 v101, v61, v55
	v_sub_f32_e32 v102, v58, v60
	;; [unrolled: 1-line block ×3, first 2 shown]
	v_fmac_f32_e32 v24, -0.5, v106
	v_fmac_f32_e32 v62, 0xbf737871, v99
	v_add_f32_e32 v106, v59, v25
	v_add_f32_e32 v33, v63, v104
	;; [unrolled: 1-line block ×3, first 2 shown]
	v_sub_f32_e32 v0, v63, v104
	v_add_f32_e32 v63, v54, v1
	v_fmac_f32_e32 v100, 0x3f167918, v101
	v_add_f32_e32 v102, v103, v102
	v_sub_f32_e32 v1, v105, v111
	v_fmamk_f32 v103, v101, 0xbf737871, v24
	v_sub_f32_e32 v104, v60, v58
	v_sub_f32_e32 v105, v54, v56
	v_fmac_f32_e32 v62, 0xbf167918, v101
	v_add_f32_e32 v107, v55, v61
	v_fmac_f32_e32 v24, 0x3f737871, v101
	v_add_f32_e32 v101, v61, v106
	v_add_f32_e32 v63, v56, v63
	;; [unrolled: 1-line block ×3, first 2 shown]
	v_fma_f32 v105, -0.5, v107, v25
	v_sub_f32_e32 v56, v58, v56
	v_add_f32_e32 v58, v55, v101
	v_add_f32_e32 v101, v57, v59
	v_fmac_f32_e32 v100, 0x3e9e377a, v102
	v_fmac_f32_e32 v103, 0x3f167918, v99
	;; [unrolled: 1-line block ×4, first 2 shown]
	v_fmamk_f32 v99, v56, 0xbf737871, v105
	v_sub_f32_e32 v54, v60, v54
	v_sub_f32_e32 v60, v59, v61
	;; [unrolled: 1-line block ×3, first 2 shown]
	v_fmac_f32_e32 v25, -0.5, v101
	v_add_f32_e32 v101, v57, v58
	v_fmac_f32_e32 v105, 0x3f737871, v56
	v_sub_f32_e32 v59, v61, v59
	v_sub_f32_e32 v55, v55, v57
	v_add_f32_e32 v57, v36, v42
	v_fmac_f32_e32 v99, 0xbf167918, v54
	v_add_f32_e32 v58, v102, v60
	v_fmamk_f32 v102, v54, 0x3f737871, v25
	v_fmac_f32_e32 v105, 0x3f167918, v54
	v_add_f32_e32 v55, v55, v59
	v_fmac_f32_e32 v25, 0xbf737871, v54
	v_fma_f32 v57, -0.5, v57, v26
	s_waitcnt vmcnt(10)
	v_sub_f32_e32 v59, v41, v35
	v_fmac_f32_e32 v103, 0x3e9e377a, v104
	v_fmac_f32_e32 v24, 0x3e9e377a, v104
	;; [unrolled: 1-line block ×4, first 2 shown]
	v_add_f32_e32 v54, v40, v26
	v_fmac_f32_e32 v105, 0x3e9e377a, v58
	v_fmac_f32_e32 v25, 0x3f167918, v56
	v_fmamk_f32 v56, v59, 0x3f737871, v57
	v_sub_f32_e32 v58, v43, v37
	v_sub_f32_e32 v60, v40, v42
	v_sub_f32_e32 v61, v34, v36
	v_fmac_f32_e32 v57, 0xbf737871, v59
	v_add_f32_e32 v104, v34, v40
	v_add_f32_e32 v54, v42, v54
	v_fmac_f32_e32 v56, 0x3f167918, v58
	v_add_f32_e32 v60, v61, v60
	v_fmac_f32_e32 v57, 0xbf167918, v58
	v_fmac_f32_e32 v26, -0.5, v104
	v_fmac_f32_e32 v102, 0x3e9e377a, v55
	v_add_f32_e32 v54, v36, v54
	v_fmac_f32_e32 v25, 0x3e9e377a, v55
	v_fmac_f32_e32 v56, 0x3e9e377a, v60
	;; [unrolled: 1-line block ×3, first 2 shown]
	v_fmamk_f32 v55, v58, 0xbf737871, v26
	v_add_f32_e32 v60, v37, v43
	v_sub_f32_e32 v61, v42, v40
	v_sub_f32_e32 v104, v36, v34
	v_fmac_f32_e32 v26, 0x3f737871, v58
	v_add_f32_e32 v54, v34, v54
	v_fmac_f32_e32 v55, 0x3f167918, v59
	v_fma_f32 v58, -0.5, v60, v27
	v_sub_f32_e32 v34, v40, v34
	v_add_f32_e32 v40, v104, v61
	v_fmac_f32_e32 v26, 0xbf167918, v59
	v_add_f32_e32 v59, v41, v27
	v_add_f32_e32 v60, v35, v41
	v_fmamk_f32 v61, v34, 0xbf737871, v58
	v_sub_f32_e32 v36, v42, v36
	v_fmac_f32_e32 v55, 0x3e9e377a, v40
	v_fmac_f32_e32 v26, 0x3e9e377a, v40
	v_fmac_f32_e32 v27, -0.5, v60
	v_add_f32_e32 v40, v43, v59
	v_sub_f32_e32 v42, v41, v43
	v_sub_f32_e32 v59, v35, v37
	v_fmac_f32_e32 v58, 0x3f737871, v34
	v_fmamk_f32 v60, v36, 0x3f737871, v27
	v_sub_f32_e32 v41, v43, v41
	v_sub_f32_e32 v43, v37, v35
	v_fmac_f32_e32 v27, 0xbf737871, v36
	v_add_f32_e32 v42, v59, v42
	v_fmac_f32_e32 v58, 0x3f167918, v36
	v_fmac_f32_e32 v61, 0xbf167918, v36
	;; [unrolled: 1-line block ×3, first 2 shown]
	v_add_f32_e32 v41, v43, v41
	v_fmac_f32_e32 v27, 0x3f167918, v34
	v_fmac_f32_e32 v58, 0x3e9e377a, v42
	v_add_f32_e32 v34, v37, v40
	v_fmac_f32_e32 v61, 0x3e9e377a, v42
	v_fmac_f32_e32 v60, 0x3e9e377a, v41
	;; [unrolled: 1-line block ×3, first 2 shown]
	v_mul_f32_e32 v59, 0x3f4f1bbd, v56
	v_mul_f32_e32 v104, 0x3e9e377a, v55
	;; [unrolled: 1-line block ×4, first 2 shown]
	v_add_f32_e32 v106, v35, v34
	v_fmac_f32_e32 v59, 0x3f167918, v61
	v_fmac_f32_e32 v104, 0x3f737871, v60
	v_fma_f32 v107, 0x3f737871, v27, -v36
	v_mul_f32_e32 v40, 0x3f4f1bbd, v57
	v_add_f32_e32 v34, v54, v63
	v_mul_f32_e32 v109, 0xbf167918, v56
	v_mul_f32_e32 v110, 0xbf737871, v55
	v_fma_f32 v112, 0xbf167918, v57, -v41
	v_sub_f32_e32 v41, v63, v54
	s_waitcnt vmcnt(3)
	v_add_f32_e32 v54, v14, v22
	v_add_f32_e32 v35, v100, v59
	;; [unrolled: 1-line block ×4, first 2 shown]
	v_fma_f32 v108, 0x3f167918, v58, -v40
	v_mul_f32_e32 v27, 0x3e9e377a, v27
	v_fmac_f32_e32 v109, 0x3f4f1bbd, v61
	v_fmac_f32_e32 v110, 0x3e9e377a, v60
	v_sub_f32_e32 v57, v100, v59
	v_sub_f32_e32 v58, v103, v104
	v_sub_f32_e32 v59, v24, v107
	v_add_f32_e32 v24, v18, v2
	v_fma_f32 v54, -0.5, v54, v2
	s_waitcnt vmcnt(1)
	v_sub_f32_e32 v63, v19, v17
	v_add_f32_e32 v104, v16, v18
	v_add_f32_e32 v40, v62, v108
	v_fma_f32 v111, 0xbf737871, v26, -v27
	v_add_f32_e32 v26, v106, v101
	v_add_f32_e32 v27, v99, v109
	;; [unrolled: 1-line block ×3, first 2 shown]
	v_sub_f32_e32 v60, v62, v108
	v_sub_f32_e32 v56, v101, v106
	;; [unrolled: 1-line block ×4, first 2 shown]
	v_add_f32_e32 v99, v22, v24
	v_fmamk_f32 v100, v63, 0x3f737871, v54
	v_sub_f32_e32 v101, v23, v15
	v_sub_f32_e32 v102, v18, v22
	;; [unrolled: 1-line block ×3, first 2 shown]
	v_fmac_f32_e32 v2, -0.5, v104
	v_fmac_f32_e32 v54, 0xbf737871, v63
	v_add_f32_e32 v106, v19, v3
	v_add_f32_e32 v43, v25, v111
	;; [unrolled: 1-line block ×3, first 2 shown]
	v_sub_f32_e32 v24, v25, v111
	v_add_f32_e32 v99, v14, v99
	v_fmac_f32_e32 v100, 0x3f167918, v101
	v_add_f32_e32 v102, v103, v102
	v_sub_f32_e32 v25, v105, v112
	v_fmamk_f32 v103, v101, 0xbf737871, v2
	v_sub_f32_e32 v104, v22, v18
	v_sub_f32_e32 v105, v14, v16
	v_fmac_f32_e32 v54, 0xbf167918, v101
	v_add_f32_e32 v107, v15, v23
	v_fmac_f32_e32 v2, 0x3f737871, v101
	v_add_f32_e32 v101, v23, v106
	v_add_f32_e32 v99, v16, v99
	;; [unrolled: 1-line block ×3, first 2 shown]
	v_fma_f32 v105, -0.5, v107, v3
	v_sub_f32_e32 v16, v18, v16
	v_add_f32_e32 v18, v15, v101
	v_add_f32_e32 v101, v17, v19
	v_fmac_f32_e32 v100, 0x3e9e377a, v102
	v_fmac_f32_e32 v103, 0x3f167918, v63
	;; [unrolled: 1-line block ×4, first 2 shown]
	v_fmamk_f32 v63, v16, 0xbf737871, v105
	v_sub_f32_e32 v14, v22, v14
	v_sub_f32_e32 v22, v19, v23
	;; [unrolled: 1-line block ×3, first 2 shown]
	v_fmac_f32_e32 v3, -0.5, v101
	v_fmac_f32_e32 v105, 0x3f737871, v16
	v_add_f32_e32 v101, v17, v18
	v_sub_f32_e32 v19, v23, v19
	v_sub_f32_e32 v15, v15, v17
	v_add_f32_e32 v17, v8, v12
	v_fmac_f32_e32 v63, 0xbf167918, v14
	v_add_f32_e32 v18, v102, v22
	v_fmamk_f32 v22, v14, 0x3f737871, v3
	v_fmac_f32_e32 v105, 0x3f167918, v14
	v_fmac_f32_e32 v3, 0xbf737871, v14
	v_add_f32_e32 v14, v10, v4
	v_add_f32_e32 v15, v15, v19
	v_fma_f32 v17, -0.5, v17, v4
	s_waitcnt vmcnt(0)
	v_sub_f32_e32 v19, v11, v7
	v_fmac_f32_e32 v103, 0x3e9e377a, v104
	v_fmac_f32_e32 v2, 0x3e9e377a, v104
	v_add_f32_e32 v14, v12, v14
	v_add_f32_e32 v104, v6, v10
	v_fmac_f32_e32 v63, 0x3e9e377a, v18
	v_fmac_f32_e32 v22, 0xbf167918, v16
	;; [unrolled: 1-line block ×4, first 2 shown]
	v_fmamk_f32 v16, v19, 0x3f737871, v17
	v_sub_f32_e32 v18, v13, v9
	v_sub_f32_e32 v23, v10, v12
	;; [unrolled: 1-line block ×3, first 2 shown]
	v_fmac_f32_e32 v17, 0xbf737871, v19
	v_add_f32_e32 v14, v8, v14
	v_fmac_f32_e32 v4, -0.5, v104
	v_fmac_f32_e32 v16, 0x3f167918, v18
	v_add_f32_e32 v23, v102, v23
	v_fmac_f32_e32 v17, 0xbf167918, v18
	v_add_f32_e32 v102, v6, v14
	v_fmamk_f32 v14, v18, 0xbf737871, v4
	v_fmac_f32_e32 v4, 0x3f737871, v18
	v_fmac_f32_e32 v22, 0x3e9e377a, v15
	;; [unrolled: 1-line block ×5, first 2 shown]
	v_add_f32_e32 v15, v9, v13
	v_sub_f32_e32 v23, v12, v10
	v_sub_f32_e32 v104, v8, v6
	v_fmac_f32_e32 v14, 0x3f167918, v19
	v_fmac_f32_e32 v4, 0xbf167918, v19
	v_add_f32_e32 v19, v7, v11
	v_fma_f32 v15, -0.5, v15, v5
	v_sub_f32_e32 v6, v10, v6
	v_add_f32_e32 v10, v104, v23
	v_add_f32_e32 v18, v11, v5
	v_sub_f32_e32 v8, v12, v8
	v_fmac_f32_e32 v5, -0.5, v19
	v_fmamk_f32 v23, v6, 0xbf737871, v15
	v_fmac_f32_e32 v14, 0x3e9e377a, v10
	v_fmac_f32_e32 v4, 0x3e9e377a, v10
	v_add_f32_e32 v10, v13, v18
	v_sub_f32_e32 v12, v11, v13
	v_sub_f32_e32 v18, v7, v9
	v_fmac_f32_e32 v15, 0x3f737871, v6
	v_fmamk_f32 v19, v8, 0x3f737871, v5
	v_sub_f32_e32 v11, v13, v11
	v_sub_f32_e32 v13, v9, v7
	v_fmac_f32_e32 v5, 0xbf737871, v8
	v_add_f32_e32 v12, v18, v12
	v_fmac_f32_e32 v15, 0x3f167918, v8
	v_fmac_f32_e32 v23, 0xbf167918, v8
	v_add_f32_e32 v11, v13, v11
	v_fmac_f32_e32 v5, 0x3f167918, v6
	v_fmac_f32_e32 v19, 0xbf167918, v6
	;; [unrolled: 1-line block ×3, first 2 shown]
	v_mul_f32_e32 v8, 0x3e9e377a, v4
	v_add_f32_e32 v6, v9, v10
	v_fmac_f32_e32 v5, 0x3e9e377a, v11
	v_fmac_f32_e32 v23, 0x3e9e377a, v12
	;; [unrolled: 1-line block ×3, first 2 shown]
	v_mul_f32_e32 v18, 0x3f4f1bbd, v16
	v_mul_f32_e32 v10, 0x3f4f1bbd, v17
	;; [unrolled: 1-line block ×4, first 2 shown]
	v_fma_f32 v107, 0x3f737871, v5, -v8
	v_mul_f32_e32 v109, 0xbf167918, v16
	v_mul_f32_e32 v5, 0x3e9e377a, v5
	;; [unrolled: 1-line block ×3, first 2 shown]
	v_add_f32_e32 v106, v7, v6
	v_fmac_f32_e32 v18, 0x3f167918, v23
	v_add_f32_e32 v6, v102, v99
	v_fma_f32 v108, 0x3f167918, v15, -v10
	v_fma_f32 v111, 0xbf167918, v17, -v11
	v_sub_f32_e32 v11, v99, v102
	v_lshlrev_b32_e32 v102, 2, v98
	v_fmac_f32_e32 v110, 0x3e9e377a, v19
	v_fmac_f32_e32 v109, 0x3f4f1bbd, v23
	v_fma_f32 v23, 0xbf737871, v4, -v5
	v_fmac_f32_e32 v104, 0x3f737871, v19
	v_add_f32_e32 v7, v100, v18
	v_add_f32_e32 v9, v2, v107
	;; [unrolled: 1-line block ×3, first 2 shown]
	v_sub_f32_e32 v4, v100, v18
	v_sub_f32_e32 v18, v2, v107
	;; [unrolled: 1-line block ×3, first 2 shown]
	v_mul_u32_u24_e32 v54, 10, v82
	v_add_nc_u32_e32 v2, 0, v102
	v_add_f32_e32 v14, v22, v110
	v_sub_f32_e32 v99, v22, v110
	v_mul_i32_i24_e32 v22, 10, v89
	v_add_f32_e32 v15, v3, v23
	v_sub_f32_e32 v100, v3, v23
	v_mul_i32_i24_e32 v3, 10, v90
	v_add_f32_e32 v13, v63, v109
	v_sub_f32_e32 v98, v63, v109
	v_lshl_add_u32 v63, v54, 2, v2
	v_add_f32_e32 v8, v103, v104
	v_sub_f32_e32 v5, v103, v104
	v_lshl_add_u32 v103, v22, 2, v2
	v_lshlrev_b32_e32 v22, 2, v82
	v_lshl_add_u32 v104, v3, 2, v2
	ds_write2_b64 v63, v[44:45], v[46:47] offset1:1
	ds_write2_b64 v63, v[48:49], v[50:51] offset0:2 offset1:3
	ds_write_b64 v63, v[52:53] offset:32
	ds_write2_b64 v103, v[34:35], v[36:37] offset1:1
	ds_write2_b64 v103, v[40:41], v[57:58] offset0:2 offset1:3
	ds_write_b64 v103, v[59:60] offset:32
	ds_write2_b64 v104, v[6:7], v[8:9] offset1:1
	v_lshlrev_b32_e32 v9, 2, v89
	v_mov_b32_e32 v23, 0
	v_add3_u32 v52, 0, v22, v102
	v_add_nc_u32_e32 v44, v2, v22
	v_lshl_add_u32 v45, v94, 2, v2
	v_add_nc_u32_e32 v46, v2, v9
	ds_write2_b64 v104, v[10:11], v[4:5] offset0:2 offset1:3
	ds_write_b64 v104, v[18:19] offset:32
	v_lshl_add_u32 v47, v95, 2, v2
	v_lshl_add_u32 v53, v92, 2, v2
	v_mov_b32_e32 v10, v23
	v_lshl_add_u32 v48, v90, 2, v2
	v_lshl_add_u32 v54, v93, 2, v2
	v_add_f32_e32 v12, v106, v101
	v_add_f32_e32 v16, v105, v111
	v_sub_f32_e32 v17, v101, v106
	v_sub_f32_e32 v101, v105, v111
	s_waitcnt lgkmcnt(0)
	s_barrier
	buffer_gl0_inv
	ds_read2_b32 v[18:19], v52 offset0:90 offset1:95
	ds_read2_b32 v[40:41], v52 offset0:120 offset1:125
	;; [unrolled: 1-line block ×4, first 2 shown]
	v_lshl_add_u32 v49, v96, 2, v2
	ds_read2_b32 v[110:111], v52 offset0:70 offset1:75
	ds_read2_b32 v[112:113], v52 offset0:100 offset1:105
	;; [unrolled: 1-line block ×3, first 2 shown]
	v_lshl_add_u32 v50, v91, 2, v2
	v_lshl_add_u32 v51, v97, 2, v2
	ds_read_b32 v8, v44
	ds_read_b32 v122, v45
	;; [unrolled: 1-line block ×8, first 2 shown]
	ds_read2_b32 v[116:117], v52 offset0:80 offset1:85
	ds_read2_b32 v[118:119], v52 offset0:110 offset1:115
	ds_read2_b32 v[120:121], v52 offset0:140 offset1:145
	ds_read_b32 v5, v53
	ds_read_b32 v4, v54
	s_waitcnt lgkmcnt(0)
	s_barrier
	buffer_gl0_inv
	ds_write2_b64 v63, v[30:31], v[32:33] offset1:1
	ds_write2_b64 v63, v[28:29], v[38:39] offset0:2 offset1:3
	ds_write_b64 v63, v[0:1] offset:32
	ds_write2_b64 v103, v[26:27], v[42:43] offset1:1
	ds_write2_b64 v103, v[55:56], v[61:62] offset0:2 offset1:3
	ds_write_b64 v103, v[24:25] offset:32
	v_lshlrev_b64 v[0:1], 3, v[22:23]
	v_lshlrev_b64 v[9:10], 3, v[9:10]
	ds_write2_b64 v104, v[12:13], v[14:15] offset1:1
	ds_write2_b64 v104, v[16:17], v[98:99] offset0:2 offset1:3
	ds_write_b64 v104, v[100:101] offset:32
	s_waitcnt lgkmcnt(0)
	s_barrier
	buffer_gl0_inv
	v_add_co_u32 v0, s0, s8, v0
	v_add_co_ci_u32_e64 v1, s0, s9, v1, s0
	v_add_co_u32 v9, s0, s8, v9
	v_add_co_ci_u32_e64 v10, s0, s9, v10, s0
	s_clause 0x2
	global_load_dwordx4 v[13:16], v[0:1], off
	global_load_dwordx4 v[24:27], v[9:10], off
	global_load_dwordx4 v[28:31], v[0:1], off offset:16
	v_and_b32_e32 v0, 0xff, v92
	v_and_b32_e32 v1, 0xff, v93
	global_load_dwordx4 v[32:35], v[9:10], off offset:16
	v_mul_lo_u16 v0, 0xcd, v0
	v_mul_lo_u16 v1, 0xcd, v1
	v_lshrrev_b16 v0, 11, v0
	v_mul_lo_u16 v0, v0, 10
	v_sub_nc_u16 v0, v92, v0
	v_and_b32_e32 v10, 0xff, v0
	v_lshrrev_b16 v0, 11, v1
	v_lshlrev_b32_e32 v1, 5, v10
	v_mul_lo_u16 v0, v0, 10
	s_clause 0x1
	global_load_dwordx4 v[36:39], v1, s[8:9]
	global_load_dwordx4 v[57:60], v1, s[8:9] offset:16
	v_sub_nc_u16 v0, v93, v0
	v_and_b32_e32 v11, 0xff, v0
	v_lshlrev_b32_e32 v0, 5, v11
	s_clause 0x1
	global_load_dwordx4 v[98:101], v0, s[8:9]
	global_load_dwordx4 v[102:105], v0, s[8:9] offset:16
	ds_read_b32 v17, v45
	ds_read2_b32 v[42:43], v52 offset0:60 offset1:65
	ds_read_b32 v22, v49
	ds_read2_b32 v[55:56], v52 offset0:70 offset1:75
	ds_read_b32 v1, v46
	ds_read_b32 v63, v47
	;; [unrolled: 1-line block ×6, first 2 shown]
	ds_read2_b32 v[61:62], v52 offset0:90 offset1:95
	s_waitcnt vmcnt(7) lgkmcnt(10)
	v_mul_f32_e32 v127, v17, v14
	v_mul_f32_e32 v128, v122, v14
	s_waitcnt lgkmcnt(9)
	v_mul_f32_e32 v129, v42, v16
	v_mul_f32_e32 v130, v124, v14
	;; [unrolled: 1-line block ×3, first 2 shown]
	v_fma_f32 v122, v122, v13, -v127
	s_waitcnt vmcnt(6)
	v_mul_f32_e32 v127, v43, v27
	v_fmac_f32_e32 v128, v17, v13
	s_waitcnt lgkmcnt(8)
	v_mul_f32_e32 v17, v22, v14
	v_fma_f32 v129, v108, v15, -v129
	v_mul_f32_e32 v108, v108, v16
	v_fma_f32 v127, v109, v26, -v127
	;; [unrolled: 2-line block ×3, first 2 shown]
	s_waitcnt lgkmcnt(7)
	v_mul_f32_e32 v17, v55, v16
	v_fmac_f32_e32 v108, v42, v15
	v_fmac_f32_e32 v131, v55, v15
	v_fmac_f32_e32 v109, v43, v26
	v_mul_f32_e32 v55, v111, v27
	v_fma_f32 v110, v110, v15, -v17
	v_mul_f32_e32 v17, v56, v27
	ds_read2_b32 v[42:43], v52 offset0:130 offset1:135
	v_mul_f32_e32 v132, v123, v25
	v_fmac_f32_e32 v55, v56, v26
	v_mul_f32_e32 v56, v125, v25
	v_fma_f32 v111, v111, v26, -v17
	s_waitcnt lgkmcnt(6)
	v_mul_f32_e32 v17, v63, v25
	s_waitcnt lgkmcnt(4)
	v_mul_f32_e32 v26, v126, v25
	v_fmac_f32_e32 v130, v22, v13
	ds_read2_b32 v[13:14], v52 offset0:120 offset1:125
	ds_read2_b32 v[15:16], v52 offset0:100 offset1:105
	s_waitcnt vmcnt(5) lgkmcnt(3)
	v_mul_f32_e32 v22, v61, v29
	v_fma_f32 v123, v123, v24, -v17
	v_fmac_f32_e32 v132, v63, v24
	v_fma_f32 v125, v125, v24, -v26
	v_fmac_f32_e32 v56, v126, v24
	s_waitcnt vmcnt(4)
	v_mul_f32_e32 v24, v62, v33
	v_mul_f32_e32 v63, v18, v29
	v_fma_f32 v126, v18, v28, -v22
	v_mul_f32_e32 v135, v19, v33
	v_mul_f32_e32 v133, v40, v31
	v_fma_f32 v134, v19, v32, -v24
	ds_read2_b32 v[18:19], v52 offset0:50 offset1:55
	s_waitcnt lgkmcnt(3)
	v_mul_f32_e32 v26, v42, v31
	ds_read2_b32 v[24:25], v52 offset0:80 offset1:85
	v_fmac_f32_e32 v63, v61, v28
	v_mul_f32_e32 v136, v112, v29
	v_mul_f32_e32 v137, v114, v31
	v_fma_f32 v114, v114, v30, -v26
	v_fmac_f32_e32 v135, v62, v32
	ds_read2_b32 v[26:27], v52 offset0:110 offset1:115
	ds_read2_b32 v[61:62], v52 offset0:140 offset1:145
	s_waitcnt lgkmcnt(5)
	v_mul_f32_e32 v17, v13, v31
	s_waitcnt lgkmcnt(4)
	v_mul_f32_e32 v22, v15, v29
	v_fmac_f32_e32 v133, v13, v30
	v_fmac_f32_e32 v136, v15, v28
	v_mul_f32_e32 v13, v14, v35
	v_mul_f32_e32 v15, v16, v33
	;; [unrolled: 1-line block ×5, first 2 shown]
	v_fma_f32 v140, v41, v34, -v13
	v_mul_f32_e32 v13, v43, v35
	v_fma_f32 v113, v113, v32, -v15
	s_waitcnt vmcnt(1) lgkmcnt(3)
	v_mul_f32_e32 v15, v19, v99
	v_fma_f32 v17, v40, v30, -v17
	v_fma_f32 v112, v112, v28, -v22
	v_fmac_f32_e32 v138, v14, v34
	v_fmac_f32_e32 v139, v16, v32
	v_fma_f32 v115, v115, v34, -v13
	v_mul_f32_e32 v13, v18, v37
	v_mul_f32_e32 v32, v106, v37
	;; [unrolled: 1-line block ×3, first 2 shown]
	v_fmac_f32_e32 v141, v43, v34
	v_mul_f32_e32 v34, v118, v58
	v_mul_f32_e32 v16, v107, v99
	s_waitcnt lgkmcnt(2)
	v_mul_f32_e32 v22, v25, v101
	v_fma_f32 v29, v107, v98, -v15
	v_add_f32_e32 v15, v129, v126
	v_add_f32_e32 v28, v8, v122
	v_fmac_f32_e32 v137, v42, v30
	v_mul_f32_e32 v14, v24, v39
	v_fma_f32 v40, v106, v36, -v13
	v_fmac_f32_e32 v32, v18, v36
	s_waitcnt lgkmcnt(1)
	v_mul_f32_e32 v13, v26, v58
	v_fmac_f32_e32 v33, v24, v38
	v_fmac_f32_e32 v34, v26, v57
	;; [unrolled: 1-line block ×3, first 2 shown]
	v_fma_f32 v24, v117, v100, -v22
	s_waitcnt vmcnt(0)
	v_mul_f32_e32 v22, v27, v103
	s_waitcnt lgkmcnt(0)
	v_mul_f32_e32 v26, v62, v105
	v_fma_f32 v19, -0.5, v15, v8
	v_sub_f32_e32 v36, v128, v133
	v_add_f32_e32 v15, v28, v129
	v_add_f32_e32 v42, v122, v17
	v_fma_f32 v37, v116, v38, -v14
	v_fma_f32 v38, v118, v57, -v13
	;; [unrolled: 1-line block ×4, first 2 shown]
	v_fmamk_f32 v22, v36, 0x3f737871, v19
	v_sub_f32_e32 v39, v108, v63
	v_sub_f32_e32 v26, v122, v129
	;; [unrolled: 1-line block ×3, first 2 shown]
	v_add_f32_e32 v15, v15, v126
	v_fmac_f32_e32 v8, -0.5, v42
	v_fmac_f32_e32 v19, 0xbf737871, v36
	v_add_f32_e32 v57, v12, v128
	v_mul_f32_e32 v14, v61, v60
	v_mul_f32_e32 v35, v120, v60
	;; [unrolled: 1-line block ×3, first 2 shown]
	v_fmac_f32_e32 v22, 0x3f167918, v39
	v_add_f32_e32 v43, v26, v28
	v_add_f32_e32 v26, v15, v17
	v_fmamk_f32 v28, v39, 0xbf737871, v8
	v_sub_f32_e32 v15, v129, v122
	v_sub_f32_e32 v42, v126, v17
	v_fmac_f32_e32 v19, 0xbf167918, v39
	v_add_f32_e32 v58, v108, v63
	v_fmac_f32_e32 v8, 0x3f737871, v39
	v_add_f32_e32 v39, v57, v108
	v_fma_f32 v41, v120, v59, -v14
	v_fmac_f32_e32 v35, v61, v59
	v_fmac_f32_e32 v18, v25, v100
	v_mul_f32_e32 v25, v119, v103
	v_fmac_f32_e32 v28, 0x3f167918, v36
	v_add_f32_e32 v42, v15, v42
	v_fma_f32 v15, -0.5, v58, v12
	v_sub_f32_e32 v57, v122, v17
	v_fmac_f32_e32 v8, 0xbf167918, v36
	v_add_f32_e32 v36, v39, v63
	v_add_f32_e32 v39, v128, v133
	v_sub_f32_e32 v58, v128, v108
	v_sub_f32_e32 v59, v133, v63
	v_fmac_f32_e32 v25, v27, v102
	v_mul_f32_e32 v27, v121, v105
	v_fmac_f32_e32 v22, 0x3e9e377a, v43
	v_fmac_f32_e32 v19, 0x3e9e377a, v43
	;; [unrolled: 1-line block ×3, first 2 shown]
	v_fmamk_f32 v17, v57, 0xbf737871, v15
	v_sub_f32_e32 v43, v129, v126
	v_fmac_f32_e32 v8, 0x3e9e377a, v42
	v_fmac_f32_e32 v12, -0.5, v39
	v_add_f32_e32 v98, v36, v133
	v_add_f32_e32 v39, v58, v59
	v_fmac_f32_e32 v15, 0x3f737871, v57
	v_sub_f32_e32 v36, v108, v128
	v_sub_f32_e32 v42, v63, v133
	v_add_f32_e32 v58, v127, v134
	v_fmac_f32_e32 v27, v62, v104
	v_fmac_f32_e32 v17, 0xbf167918, v43
	v_fmamk_f32 v99, v43, 0x3f737871, v12
	v_fmac_f32_e32 v15, 0x3f167918, v43
	v_add_f32_e32 v42, v36, v42
	v_add_f32_e32 v59, v7, v123
	v_fma_f32 v36, -0.5, v58, v7
	v_sub_f32_e32 v58, v132, v138
	v_fmac_f32_e32 v12, 0xbf737871, v43
	v_add_f32_e32 v62, v123, v140
	v_fmac_f32_e32 v17, 0x3e9e377a, v39
	v_fmac_f32_e32 v99, 0xbf167918, v57
	;; [unrolled: 1-line block ×3, first 2 shown]
	v_add_f32_e32 v43, v59, v127
	v_fmamk_f32 v39, v58, 0x3f737871, v36
	v_sub_f32_e32 v59, v109, v135
	v_sub_f32_e32 v60, v123, v127
	;; [unrolled: 1-line block ×3, first 2 shown]
	v_fmac_f32_e32 v12, 0x3f167918, v57
	v_fmac_f32_e32 v7, -0.5, v62
	v_fmac_f32_e32 v36, 0xbf737871, v58
	v_add_f32_e32 v62, v1, v132
	v_fmac_f32_e32 v99, 0x3e9e377a, v42
	v_fmac_f32_e32 v39, 0x3f167918, v59
	v_add_f32_e32 v57, v60, v61
	v_fmac_f32_e32 v12, 0x3e9e377a, v42
	v_fmamk_f32 v42, v59, 0xbf737871, v7
	v_sub_f32_e32 v60, v127, v123
	v_sub_f32_e32 v61, v134, v140
	v_fmac_f32_e32 v36, 0xbf167918, v59
	v_add_f32_e32 v63, v109, v135
	v_fmac_f32_e32 v7, 0x3f737871, v59
	v_add_f32_e32 v59, v62, v109
	v_fmac_f32_e32 v39, 0x3e9e377a, v57
	v_fmac_f32_e32 v42, 0x3f167918, v58
	v_add_f32_e32 v60, v60, v61
	v_fma_f32 v100, -0.5, v63, v1
	v_sub_f32_e32 v61, v123, v140
	v_fmac_f32_e32 v36, 0x3e9e377a, v57
	v_fmac_f32_e32 v7, 0xbf167918, v58
	v_add_f32_e32 v57, v59, v135
	v_add_f32_e32 v58, v132, v138
	v_sub_f32_e32 v62, v132, v109
	v_sub_f32_e32 v63, v138, v135
	v_fmac_f32_e32 v42, 0x3e9e377a, v60
	v_fmamk_f32 v101, v61, 0xbf737871, v100
	v_sub_f32_e32 v59, v127, v134
	v_fmac_f32_e32 v7, 0x3e9e377a, v60
	v_fmac_f32_e32 v1, -0.5, v58
	v_add_f32_e32 v102, v57, v138
	v_add_f32_e32 v57, v62, v63
	v_fmac_f32_e32 v100, 0x3f737871, v61
	v_sub_f32_e32 v58, v109, v132
	v_sub_f32_e32 v60, v135, v138
	v_add_f32_e32 v62, v110, v112
	v_fmac_f32_e32 v101, 0xbf167918, v59
	v_fmamk_f32 v103, v59, 0x3f737871, v1
	v_fmac_f32_e32 v100, 0x3f167918, v59
	v_add_f32_e32 v58, v58, v60
	v_add_f32_e32 v60, v6, v124
	v_fma_f32 v62, -0.5, v62, v6
	v_sub_f32_e32 v63, v130, v137
	v_fmac_f32_e32 v1, 0xbf737871, v59
	v_add_f32_e32 v106, v124, v114
	v_fmac_f32_e32 v101, 0x3e9e377a, v57
	v_fmac_f32_e32 v103, 0xbf167918, v61
	;; [unrolled: 1-line block ×3, first 2 shown]
	v_add_f32_e32 v57, v60, v110
	v_fmamk_f32 v59, v63, 0x3f737871, v62
	v_sub_f32_e32 v60, v131, v136
	v_sub_f32_e32 v104, v124, v110
	;; [unrolled: 1-line block ×3, first 2 shown]
	v_fmac_f32_e32 v1, 0x3f167918, v61
	v_fmac_f32_e32 v6, -0.5, v106
	v_fmac_f32_e32 v62, 0xbf737871, v63
	v_add_f32_e32 v106, v9, v130
	v_fmac_f32_e32 v103, 0x3e9e377a, v58
	v_fmac_f32_e32 v59, 0x3f167918, v60
	v_add_f32_e32 v61, v104, v105
	v_fmac_f32_e32 v1, 0x3e9e377a, v58
	v_fmamk_f32 v58, v60, 0xbf737871, v6
	v_sub_f32_e32 v104, v110, v124
	v_sub_f32_e32 v105, v112, v114
	v_fmac_f32_e32 v62, 0xbf167918, v60
	v_add_f32_e32 v107, v131, v136
	v_fmac_f32_e32 v6, 0x3f737871, v60
	v_add_f32_e32 v60, v106, v131
	v_fmac_f32_e32 v59, 0x3e9e377a, v61
	v_fmac_f32_e32 v58, 0x3f167918, v63
	v_add_f32_e32 v104, v104, v105
	v_fma_f32 v105, -0.5, v107, v9
	v_sub_f32_e32 v106, v124, v114
	v_fmac_f32_e32 v62, 0x3e9e377a, v61
	v_fmac_f32_e32 v6, 0xbf167918, v63
	v_add_f32_e32 v60, v60, v136
	v_add_f32_e32 v61, v130, v137
	v_sub_f32_e32 v108, v130, v131
	v_sub_f32_e32 v109, v137, v136
	v_fmac_f32_e32 v58, 0x3e9e377a, v104
	v_fmamk_f32 v107, v106, 0xbf737871, v105
	v_sub_f32_e32 v63, v110, v112
	v_fmac_f32_e32 v6, 0x3e9e377a, v104
	v_fmac_f32_e32 v9, -0.5, v61
	v_add_f32_e32 v104, v60, v137
	v_add_f32_e32 v60, v108, v109
	v_fmac_f32_e32 v105, 0x3f737871, v106
	v_sub_f32_e32 v61, v131, v130
	v_sub_f32_e32 v109, v136, v137
	v_add_f32_e32 v57, v57, v112
	v_fmac_f32_e32 v107, 0xbf167918, v63
	v_fmamk_f32 v108, v63, 0x3f737871, v9
	v_add_f32_e32 v110, v111, v113
	v_fmac_f32_e32 v105, 0x3f167918, v63
	v_add_f32_e32 v61, v61, v109
	v_add_f32_e32 v109, v3, v125
	v_fmac_f32_e32 v9, 0xbf737871, v63
	v_add_f32_e32 v117, v125, v115
	v_add_f32_e32 v57, v57, v114
	v_fmac_f32_e32 v107, 0x3e9e377a, v60
	v_fmac_f32_e32 v108, 0xbf167918, v106
	v_fma_f32 v110, -0.5, v110, v3
	v_sub_f32_e32 v112, v56, v141
	v_fmac_f32_e32 v105, 0x3e9e377a, v60
	v_add_f32_e32 v60, v109, v111
	v_sub_f32_e32 v109, v55, v139
	v_sub_f32_e32 v114, v125, v111
	;; [unrolled: 1-line block ×3, first 2 shown]
	v_fmac_f32_e32 v9, 0x3f167918, v106
	v_fmac_f32_e32 v3, -0.5, v117
	v_fmac_f32_e32 v108, 0x3e9e377a, v61
	v_fmamk_f32 v63, v112, 0x3f737871, v110
	v_add_f32_e32 v60, v60, v113
	v_add_f32_e32 v106, v114, v116
	v_fmac_f32_e32 v9, 0x3e9e377a, v61
	v_fmac_f32_e32 v110, 0xbf737871, v112
	v_fmamk_f32 v61, v109, 0xbf737871, v3
	v_sub_f32_e32 v114, v111, v125
	v_sub_f32_e32 v116, v113, v115
	v_add_f32_e32 v117, v0, v56
	v_add_f32_e32 v118, v55, v139
	v_fmac_f32_e32 v3, 0x3f737871, v109
	v_fmac_f32_e32 v63, 0x3f167918, v109
	v_add_f32_e32 v60, v60, v115
	v_fmac_f32_e32 v110, 0xbf167918, v109
	v_fmac_f32_e32 v61, 0x3f167918, v112
	v_add_f32_e32 v114, v114, v116
	v_add_f32_e32 v109, v117, v55
	v_fma_f32 v116, -0.5, v118, v0
	v_sub_f32_e32 v115, v125, v115
	v_fmac_f32_e32 v3, 0xbf167918, v112
	ds_read_b32 v14, v53
	ds_read_b32 v13, v54
	v_fmac_f32_e32 v63, 0x3e9e377a, v106
	v_fmac_f32_e32 v110, 0x3e9e377a, v106
	;; [unrolled: 1-line block ×3, first 2 shown]
	v_add_f32_e32 v106, v109, v139
	v_fmamk_f32 v109, v115, 0xbf737871, v116
	v_add_f32_e32 v112, v56, v141
	v_sub_f32_e32 v111, v111, v113
	v_sub_f32_e32 v113, v56, v55
	;; [unrolled: 1-line block ×3, first 2 shown]
	v_fmac_f32_e32 v3, 0x3e9e377a, v114
	v_fmac_f32_e32 v116, 0x3f737871, v115
	v_sub_f32_e32 v55, v55, v56
	v_sub_f32_e32 v56, v139, v141
	v_add_f32_e32 v114, v37, v38
	v_fmac_f32_e32 v0, -0.5, v112
	v_fmac_f32_e32 v109, 0xbf167918, v111
	v_add_f32_e32 v112, v113, v117
	v_fmac_f32_e32 v116, 0x3f167918, v111
	v_add_f32_e32 v55, v55, v56
	v_add_f32_e32 v56, v5, v40
	v_fma_f32 v114, -0.5, v114, v5
	v_sub_f32_e32 v117, v32, v35
	v_fmamk_f32 v113, v111, 0x3f737871, v0
	v_fmac_f32_e32 v109, 0x3e9e377a, v112
	v_fmac_f32_e32 v116, 0x3e9e377a, v112
	v_fmac_f32_e32 v0, 0xbf737871, v111
	v_add_f32_e32 v56, v56, v37
	v_fmamk_f32 v111, v117, 0x3f737871, v114
	v_sub_f32_e32 v112, v33, v34
	v_sub_f32_e32 v118, v40, v37
	;; [unrolled: 1-line block ×3, first 2 shown]
	v_add_f32_e32 v120, v40, v41
	v_fmac_f32_e32 v114, 0xbf737871, v117
	v_fmac_f32_e32 v113, 0xbf167918, v115
	v_fmac_f32_e32 v0, 0x3f167918, v115
	v_add_f32_e32 v56, v56, v38
	v_fmac_f32_e32 v111, 0x3f167918, v112
	v_add_f32_e32 v115, v118, v119
	v_fmac_f32_e32 v5, -0.5, v120
	v_sub_f32_e32 v118, v37, v40
	v_sub_f32_e32 v119, v38, v41
	v_fmac_f32_e32 v114, 0xbf167918, v112
	s_waitcnt lgkmcnt(1)
	v_add_f32_e32 v120, v14, v32
	v_add_f32_e32 v121, v33, v34
	v_fmac_f32_e32 v113, 0x3e9e377a, v55
	v_fmac_f32_e32 v0, 0x3e9e377a, v55
	v_add_f32_e32 v55, v56, v41
	v_fmac_f32_e32 v111, 0x3e9e377a, v115
	v_fmamk_f32 v56, v112, 0xbf737871, v5
	v_add_f32_e32 v118, v118, v119
	v_fmac_f32_e32 v5, 0x3f737871, v112
	v_add_f32_e32 v112, v120, v33
	v_fma_f32 v119, -0.5, v121, v14
	v_sub_f32_e32 v40, v40, v41
	v_fmac_f32_e32 v114, 0x3e9e377a, v115
	v_add_f32_e32 v115, v32, v35
	v_fmac_f32_e32 v56, 0x3f167918, v117
	v_fmac_f32_e32 v5, 0xbf167918, v117
	v_add_f32_e32 v41, v112, v34
	v_fmamk_f32 v112, v40, 0xbf737871, v119
	v_sub_f32_e32 v37, v37, v38
	v_sub_f32_e32 v38, v32, v33
	;; [unrolled: 1-line block ×3, first 2 shown]
	v_fmac_f32_e32 v14, -0.5, v115
	v_fmac_f32_e32 v119, 0x3f737871, v40
	v_sub_f32_e32 v32, v33, v32
	v_sub_f32_e32 v33, v34, v35
	v_add_f32_e32 v34, v24, v30
	v_add_f32_e32 v115, v41, v35
	v_fmac_f32_e32 v112, 0xbf167918, v37
	v_add_f32_e32 v38, v38, v117
	v_fmamk_f32 v117, v37, 0x3f737871, v14
	v_fmac_f32_e32 v119, 0x3f167918, v37
	v_add_f32_e32 v32, v32, v33
	v_fmac_f32_e32 v14, 0xbf737871, v37
	v_add_f32_e32 v33, v4, v29
	v_fma_f32 v34, -0.5, v34, v4
	v_sub_f32_e32 v35, v16, v27
	v_fmac_f32_e32 v56, 0x3e9e377a, v118
	v_fmac_f32_e32 v5, 0x3e9e377a, v118
	;; [unrolled: 1-line block ×6, first 2 shown]
	v_add_f32_e32 v33, v33, v24
	v_fmamk_f32 v37, v35, 0x3f737871, v34
	v_sub_f32_e32 v38, v18, v25
	v_sub_f32_e32 v40, v29, v24
	;; [unrolled: 1-line block ×3, first 2 shown]
	v_fmac_f32_e32 v34, 0xbf737871, v35
	v_add_f32_e32 v118, v29, v31
	v_add_f32_e32 v33, v33, v30
	v_fmac_f32_e32 v37, 0x3f167918, v38
	v_add_f32_e32 v40, v40, v41
	v_fmac_f32_e32 v34, 0xbf167918, v38
	v_fmac_f32_e32 v4, -0.5, v118
	v_fmac_f32_e32 v117, 0x3e9e377a, v32
	v_fmac_f32_e32 v14, 0x3e9e377a, v32
	v_add_f32_e32 v32, v33, v31
	v_fmac_f32_e32 v37, 0x3e9e377a, v40
	v_fmac_f32_e32 v34, 0x3e9e377a, v40
	v_fmamk_f32 v33, v38, 0xbf737871, v4
	v_add_f32_e32 v40, v18, v25
	v_sub_f32_e32 v41, v24, v29
	v_sub_f32_e32 v118, v30, v31
	v_fmac_f32_e32 v4, 0x3f737871, v38
	s_waitcnt lgkmcnt(0)
	v_add_f32_e32 v38, v13, v16
	v_fma_f32 v120, -0.5, v40, v13
	v_sub_f32_e32 v29, v29, v31
	v_fmac_f32_e32 v33, 0x3f167918, v35
	v_add_f32_e32 v31, v41, v118
	v_fmac_f32_e32 v4, 0xbf167918, v35
	v_add_f32_e32 v35, v38, v18
	v_add_f32_e32 v38, v16, v27
	;; [unrolled: 1-line block ×3, first 2 shown]
	v_fmamk_f32 v118, v29, 0xbf737871, v120
	v_sub_f32_e32 v24, v24, v30
	v_fmac_f32_e32 v33, 0x3e9e377a, v31
	v_fmac_f32_e32 v4, 0x3e9e377a, v31
	v_add_f32_e32 v30, v35, v25
	v_fmac_f32_e32 v13, -0.5, v38
	v_sub_f32_e32 v31, v16, v18
	v_sub_f32_e32 v35, v27, v25
	v_fmac_f32_e32 v120, 0x3f737871, v29
	v_add_f32_e32 v43, v43, v140
	v_fmac_f32_e32 v118, 0xbf167918, v24
	v_fmamk_f32 v121, v24, 0x3f737871, v13
	v_sub_f32_e32 v16, v18, v16
	v_sub_f32_e32 v18, v25, v27
	v_fmac_f32_e32 v13, 0xbf737871, v24
	v_add_f32_e32 v25, v31, v35
	v_fmac_f32_e32 v120, 0x3f167918, v24
	s_barrier
	buffer_gl0_inv
	ds_write2_b32 v52, v26, v22 offset1:10
	ds_write2_b32 v52, v28, v8 offset0:20 offset1:30
	ds_write_b32 v52, v19 offset:160
	ds_write2_b32 v46, v43, v39 offset1:10
	v_lshl_add_u32 v8, v88, 2, v2
	ds_write2_b32 v46, v42, v7 offset0:20 offset1:30
	ds_write_b32 v46, v36 offset:160
	ds_write2_b32 v52, v57, v59 offset0:50 offset1:60
	ds_write_b32 v52, v58 offset:280
	ds_write_b32 v8, v6
	ds_write_b32 v52, v62 offset:360
	v_lshl_add_u32 v6, v10, 2, v2
	v_lshl_add_u32 v2, v11, 2, v2
	v_fmac_f32_e32 v121, 0xbf167918, v29
	v_add_f32_e32 v16, v16, v18
	v_fmac_f32_e32 v13, 0x3f167918, v29
	v_add_f32_e32 v18, v30, v27
	v_fmac_f32_e32 v118, 0x3e9e377a, v25
	v_fmac_f32_e32 v120, 0x3e9e377a, v25
	ds_write2_b32 v46, v60, v63 offset0:50 offset1:60
	ds_write2_b32 v46, v61, v3 offset0:70 offset1:80
	ds_write_b32 v46, v110 offset:360
	ds_write2_b32 v6, v55, v111 offset0:100 offset1:110
	ds_write2_b32 v6, v56, v5 offset0:120 offset1:130
	ds_write_b32 v6, v114 offset:560
	;; [unrolled: 3-line block ×3, first 2 shown]
	s_waitcnt lgkmcnt(0)
	s_barrier
	buffer_gl0_inv
	ds_read_b32 v55, v44
	ds_read2_b32 v[24:25], v52 offset0:50 offset1:55
	ds_read2_b32 v[28:29], v52 offset0:60 offset1:65
	;; [unrolled: 1-line block ×6, first 2 shown]
	ds_read_b32 v59, v53
	ds_read_b32 v60, v54
	;; [unrolled: 1-line block ×9, first 2 shown]
	ds_read2_b32 v[38:39], v52 offset0:80 offset1:85
	ds_read2_b32 v[36:37], v52 offset0:130 offset1:135
	;; [unrolled: 1-line block ×4, first 2 shown]
	v_add_f32_e32 v106, v106, v141
	v_fmac_f32_e32 v121, 0x3e9e377a, v16
	v_fmac_f32_e32 v13, 0x3e9e377a, v16
	s_waitcnt lgkmcnt(0)
	s_barrier
	buffer_gl0_inv
	ds_write2_b32 v52, v98, v17 offset1:10
	ds_write2_b32 v52, v99, v12 offset0:20 offset1:30
	ds_write_b32 v52, v15 offset:160
	ds_write2_b32 v46, v102, v101 offset1:10
	ds_write2_b32 v46, v103, v1 offset0:20 offset1:30
	ds_write_b32 v46, v100 offset:160
	ds_write2_b32 v52, v104, v107 offset0:50 offset1:60
	ds_write_b32 v52, v108 offset:280
	ds_write_b32 v8, v9
	ds_write_b32 v52, v105 offset:360
	ds_write2_b32 v46, v106, v109 offset0:50 offset1:60
	ds_write2_b32 v46, v113, v0 offset0:70 offset1:80
	ds_write_b32 v46, v116 offset:360
	ds_write2_b32 v6, v115, v112 offset0:100 offset1:110
	ds_write2_b32 v6, v117, v14 offset0:120 offset1:130
	;; [unrolled: 3-line block ×3, first 2 shown]
	ds_write_b32 v2, v120 offset:560
	s_waitcnt lgkmcnt(0)
	s_barrier
	buffer_gl0_inv
	s_and_saveexec_b32 s0, vcc_lo
	s_cbranch_execz .LBB0_14
; %bb.13:
	v_lshlrev_b32_e32 v22, 1, v97
	v_mad_u64_u32 v[116:117], null, s2, v82, 0
	v_mad_u64_u32 v[118:119], null, s2, v85, 0
	v_lshlrev_b64 v[0:1], 3, v[22:23]
	v_lshlrev_b32_e32 v22, 1, v96
	v_mad_u64_u32 v[120:121], null, s2, v87, 0
	v_mad_u64_u32 v[122:123], null, s2, v81, 0
	v_lshlrev_b64 v[2:3], 3, v[22:23]
	v_lshlrev_b32_e32 v22, 1, v95
	v_add_co_u32 v0, vcc_lo, s8, v0
	v_add_co_ci_u32_e32 v1, vcc_lo, s9, v1, vcc_lo
	v_lshlrev_b64 v[8:9], 3, v[22:23]
	v_lshlrev_b32_e32 v22, 1, v94
	v_mad_u64_u32 v[124:125], null, s2, v86, 0
	global_load_dwordx4 v[4:7], v[0:1], off offset:320
	v_add_co_u32 v0, vcc_lo, s8, v2
	v_add_co_ci_u32_e32 v1, vcc_lo, s9, v3, vcc_lo
	v_add_co_u32 v8, vcc_lo, s8, v8
	v_add_co_ci_u32_e32 v9, vcc_lo, s9, v9, vcc_lo
	global_load_dwordx4 v[0:3], v[0:1], off offset:320
	v_mad_u64_u32 v[126:127], null, s2, v84, 0
	global_load_dwordx4 v[16:19], v[8:9], off offset:320
	v_lshlrev_b64 v[8:9], 3, v[22:23]
	v_lshlrev_b32_e32 v22, 1, v93
	v_mad_u64_u32 v[128:129], null, s2, v80, 0
	v_lshlrev_b64 v[12:13], 3, v[22:23]
	v_lshlrev_b32_e32 v22, 1, v92
	v_add_co_u32 v8, vcc_lo, s8, v8
	v_add_co_ci_u32_e32 v9, vcc_lo, s9, v9, vcc_lo
	v_lshlrev_b64 v[92:93], 3, v[22:23]
	v_add_co_u32 v12, vcc_lo, s8, v12
	v_add_co_ci_u32_e32 v13, vcc_lo, s9, v13, vcc_lo
	v_lshlrev_b32_e32 v22, 1, v91
	v_add_co_u32 v92, vcc_lo, s8, v92
	v_add_co_ci_u32_e32 v93, vcc_lo, s9, v93, vcc_lo
	v_lshlrev_b64 v[96:97], 3, v[22:23]
	v_lshlrev_b32_e32 v22, 1, v90
	s_clause 0x2
	global_load_dwordx4 v[8:11], v[8:9], off offset:320
	global_load_dwordx4 v[12:15], v[12:13], off offset:320
	;; [unrolled: 1-line block ×3, first 2 shown]
	v_lshlrev_b64 v[90:91], 3, v[22:23]
	v_add_co_u32 v96, vcc_lo, s8, v96
	v_add_co_ci_u32_e32 v97, vcc_lo, s9, v97, vcc_lo
	v_lshlrev_b32_e32 v22, 1, v89
	v_add_co_u32 v90, vcc_lo, s8, v90
	v_add_co_ci_u32_e32 v91, vcc_lo, s9, v91, vcc_lo
	s_clause 0x1
	global_load_dwordx4 v[96:99], v[96:97], off offset:320
	global_load_dwordx4 v[100:103], v[90:91], off offset:320
	v_lshlrev_b64 v[89:90], 3, v[22:23]
	v_lshlrev_b32_e32 v22, 1, v82
	v_mov_b32_e32 v91, v117
	v_mov_b32_e32 v117, v119
	;; [unrolled: 1-line block ×4, first 2 shown]
	v_lshlrev_b64 v[22:23], 3, v[22:23]
	v_add_co_u32 v89, vcc_lo, s8, v89
	v_add_co_ci_u32_e32 v90, vcc_lo, s9, v90, vcc_lo
	v_mov_b32_e32 v123, v125
	v_add_co_u32 v22, vcc_lo, s8, v22
	global_load_dwordx4 v[104:107], v[89:90], off offset:320
	v_add_co_ci_u32_e32 v23, vcc_lo, s9, v23, vcc_lo
	v_add_co_u32 v20, vcc_lo, s12, v20
	v_add_co_ci_u32_e32 v21, vcc_lo, s13, v21, vcc_lo
	global_load_dwordx4 v[108:111], v[22:23], off offset:320
	ds_read2_b32 v[22:23], v52 offset0:90 offset1:95
	ds_read2_b32 v[89:90], v52 offset0:140 offset1:145
	;; [unrolled: 1-line block ×6, first 2 shown]
	s_waitcnt vmcnt(4)
	v_mad_u64_u32 v[130:131], null, s3, v82, v[91:92]
	v_mad_u64_u32 v[131:132], null, s3, v85, v[117:118]
	;; [unrolled: 1-line block ×4, first 2 shown]
	v_mov_b32_e32 v82, v127
	v_mov_b32_e32 v85, v129
	v_mad_u64_u32 v[133:134], null, s3, v81, v[121:122]
	v_mov_b32_e32 v117, v130
	v_mad_u64_u32 v[81:82], null, s3, v84, v[82:83]
	v_mad_u64_u32 v[84:85], null, s3, v80, v[85:86]
	v_mov_b32_e32 v119, v131
	ds_read_b32 v87, v54
	ds_read_b32 v91, v53
	v_mov_b32_e32 v121, v132
	ds_read2_b32 v[53:54], v52 offset0:50 offset1:55
	v_mov_b32_e32 v123, v133
	ds_read2_b32 v[130:131], v52 offset0:60 offset1:65
	v_mov_b32_e32 v129, v84
	s_waitcnt lgkmcnt(8)
	v_mul_f32_e32 v84, v90, v7
	v_mul_f32_e32 v7, v41, v7
	v_mov_b32_e32 v125, v86
	ds_read2_b32 v[85:86], v52 offset0:110 offset1:115
	ds_read2_b32 v[132:133], v52 offset0:100 offset1:105
	v_mad_u64_u32 v[134:135], null, s2, v83, 0
	v_fma_f32 v41, v41, v6, -v84
	v_fmac_f32_e32 v7, v6, v90
	ds_read_b32 v6, v51
	v_mul_f32_e32 v52, v23, v5
	v_mul_f32_e32 v5, v43, v5
	v_mov_b32_e32 v127, v81
	v_mov_b32_e32 v80, v135
	v_fma_f32 v43, v43, v4, -v52
	v_fmac_f32_e32 v5, v4, v23
	v_mul_f32_e32 v4, v22, v1
	v_mad_u64_u32 v[82:83], null, s3, v83, v[80:81]
	v_lshlrev_b64 v[80:81], 3, v[116:117]
	v_lshlrev_b64 v[116:117], 3, v[120:121]
	;; [unrolled: 1-line block ×4, first 2 shown]
	v_mul_f32_e32 v23, v89, v3
	v_fma_f32 v4, v42, v0, -v4
	v_mul_f32_e32 v42, v42, v1
	ds_read_b32 v50, v50
	ds_read_b32 v49, v49
	;; [unrolled: 1-line block ×7, first 2 shown]
	v_mul_f32_e32 v44, v40, v3
	v_mad_u64_u32 v[51:52], null, s2, v76, 0
	v_fma_f32 v40, v40, v2, -v23
	v_fmac_f32_e32 v42, v0, v22
	v_fmac_f32_e32 v44, v2, v89
	v_add_f32_e32 v0, v5, v7
	s_waitcnt lgkmcnt(7)
	v_add_f32_e32 v2, v5, v6
	v_add_f32_e32 v3, v43, v41
	v_sub_f32_e32 v48, v5, v7
	v_add_f32_e32 v5, v88, v43
	v_mov_b32_e32 v22, v52
	v_sub_f32_e32 v46, v43, v41
	v_mul_f32_e32 v43, v113, v17
	v_mul_f32_e32 v52, v115, v19
	v_fma_f32 v1, -0.5, v0, v6
	v_fma_f32 v0, -0.5, v3, v88
	v_mul_f32_e32 v88, v39, v17
	v_mul_f32_e32 v19, v37, v19
	v_add_f32_e32 v3, v7, v2
	v_add_f32_e32 v2, v5, v41
	;; [unrolled: 1-line block ×3, first 2 shown]
	v_sub_f32_e32 v41, v4, v40
	v_fma_f32 v39, v39, v16, -v43
	v_fma_f32 v37, v37, v18, -v52
	v_fmac_f32_e32 v88, v16, v113
	v_fmac_f32_e32 v19, v18, v115
	s_waitcnt lgkmcnt(5)
	v_add_f32_e32 v16, v42, v49
	v_add_f32_e32 v6, v4, v40
	v_sub_f32_e32 v18, v42, v44
	v_add_f32_e32 v42, v63, v4
	v_mul_f32_e32 v43, v112, v9
	v_mul_f32_e32 v52, v114, v11
	v_fma_f32 v7, -0.5, v5, v49
	v_fmamk_f32 v5, v46, 0x3f5db3d7, v1
	v_fmac_f32_e32 v1, 0xbf5db3d7, v46
	v_mul_f32_e32 v46, v38, v9
	v_fmamk_f32 v4, v48, 0xbf5db3d7, v0
	v_fmac_f32_e32 v0, 0x3f5db3d7, v48
	v_mul_f32_e32 v48, v36, v11
	v_fma_f32 v6, -0.5, v6, v63
	v_add_f32_e32 v17, v44, v16
	v_add_f32_e32 v16, v42, v40
	v_sub_f32_e32 v40, v39, v37
	v_add_f32_e32 v11, v88, v19
	v_fma_f32 v38, v38, v8, -v43
	s_waitcnt lgkmcnt(3)
	v_add_f32_e32 v42, v88, v47
	v_add_f32_e32 v43, v39, v37
	v_sub_f32_e32 v44, v88, v19
	v_add_f32_e32 v39, v62, v39
	v_fma_f32 v49, v36, v10, -v52
	v_fmac_f32_e32 v46, v8, v112
	v_fmac_f32_e32 v48, v10, v114
	v_mul_f32_e32 v36, v137, v13
	v_mul_f32_e32 v52, v139, v15
	;; [unrolled: 1-line block ×4, first 2 shown]
	v_fmamk_f32 v9, v41, 0x3f5db3d7, v7
	v_fmac_f32_e32 v7, 0xbf5db3d7, v41
	v_fmamk_f32 v8, v18, 0xbf5db3d7, v6
	v_fmac_f32_e32 v6, 0x3f5db3d7, v18
	v_fma_f32 v11, -0.5, v11, v47
	v_add_f32_e32 v19, v19, v42
	v_fma_f32 v10, -0.5, v43, v62
	v_add_f32_e32 v18, v39, v37
	v_sub_f32_e32 v37, v38, v49
	v_add_f32_e32 v15, v46, v48
	s_waitcnt lgkmcnt(1)
	v_add_f32_e32 v39, v46, v45
	v_add_f32_e32 v41, v38, v49
	v_sub_f32_e32 v42, v46, v48
	v_add_f32_e32 v38, v61, v38
	v_fma_f32 v33, v33, v12, -v36
	v_fma_f32 v43, v35, v14, -v52
	v_fmac_f32_e32 v63, v12, v137
	v_fmac_f32_e32 v88, v14, v139
	v_mul_f32_e32 v46, v136, v93
	v_mul_f32_e32 v47, v138, v95
	;; [unrolled: 1-line block ×4, first 2 shown]
	v_fmamk_f32 v12, v44, 0xbf5db3d7, v10
	v_fmac_f32_e32 v10, 0x3f5db3d7, v44
	v_fma_f32 v15, -0.5, v15, v45
	v_add_f32_e32 v36, v48, v39
	v_fma_f32 v14, -0.5, v41, v61
	v_add_f32_e32 v35, v38, v49
	v_add_f32_e32 v38, v63, v88
	;; [unrolled: 1-line block ×4, first 2 shown]
	v_sub_f32_e32 v45, v63, v88
	v_add_f32_e32 v48, v60, v33
	v_fma_f32 v46, v32, v92, -v46
	v_fma_f32 v34, v34, v94, -v47
	v_fmac_f32_e32 v52, v92, v136
	v_fmac_f32_e32 v62, v94, v138
	s_waitcnt vmcnt(3)
	v_mul_f32_e32 v47, v131, v97
	v_mul_f32_e32 v49, v86, v99
	;; [unrolled: 1-line block ×4, first 2 shown]
	v_fmamk_f32 v13, v40, 0x3f5db3d7, v11
	v_fmac_f32_e32 v11, 0xbf5db3d7, v40
	v_sub_f32_e32 v41, v33, v43
	v_fmamk_f32 v33, v37, 0x3f5db3d7, v15
	v_fmac_f32_e32 v15, 0xbf5db3d7, v37
	v_fma_f32 v38, -0.5, v38, v87
	v_add_f32_e32 v40, v88, v39
	v_fma_f32 v37, -0.5, v44, v60
	v_add_f32_e32 v39, v48, v43
	v_add_f32_e32 v43, v52, v62
	;; [unrolled: 1-line block ×5, first 2 shown]
	v_fma_f32 v29, v29, v96, -v47
	v_fma_f32 v47, v31, v98, -v49
	v_fmac_f32_e32 v61, v96, v131
	v_fmac_f32_e32 v63, v98, v86
	s_waitcnt vmcnt(2)
	v_mul_f32_e32 v31, v130, v101
	v_mul_f32_e32 v49, v85, v103
	;; [unrolled: 1-line block ×4, first 2 shown]
	v_fmamk_f32 v32, v42, 0xbf5db3d7, v14
	v_fmac_f32_e32 v14, 0x3f5db3d7, v42
	v_sub_f32_e32 v48, v46, v34
	v_sub_f32_e32 v52, v52, v62
	v_fmamk_f32 v42, v41, 0x3f5db3d7, v38
	v_fmac_f32_e32 v38, 0xbf5db3d7, v41
	v_fmamk_f32 v41, v45, 0xbf5db3d7, v37
	v_fmac_f32_e32 v37, 0x3f5db3d7, v45
	v_fma_f32 v44, -0.5, v43, v91
	v_add_f32_e32 v46, v62, v60
	v_fma_f32 v43, -0.5, v87, v59
	v_add_f32_e32 v45, v88, v34
	v_add_f32_e32 v59, v61, v63
	v_add_f32_e32 v60, v61, v50
	v_add_f32_e32 v62, v29, v47
	v_add_f32_e32 v87, v58, v29
	v_fma_f32 v88, v28, v100, -v31
	v_fma_f32 v91, v30, v102, -v49
	v_fmac_f32_e32 v86, v100, v130
	v_fmac_f32_e32 v89, v102, v85
	s_waitcnt vmcnt(1)
	v_mul_f32_e32 v49, v54, v105
	v_mul_f32_e32 v85, v133, v107
	;; [unrolled: 1-line block ×3, first 2 shown]
	v_sub_f32_e32 v34, v29, v47
	v_sub_f32_e32 v61, v61, v63
	v_mul_f32_e32 v93, v27, v107
	v_fmamk_f32 v29, v48, 0x3f5db3d7, v44
	v_fmac_f32_e32 v44, 0xbf5db3d7, v48
	v_fmamk_f32 v28, v52, 0xbf5db3d7, v43
	v_fmac_f32_e32 v43, 0x3f5db3d7, v52
	v_fma_f32 v31, -0.5, v59, v50
	v_add_f32_e32 v48, v63, v60
	v_fma_f32 v30, -0.5, v62, v58
	v_add_f32_e32 v47, v87, v47
	v_sub_f32_e32 v52, v88, v91
	v_add_f32_e32 v58, v86, v89
	v_add_f32_e32 v59, v86, v84
	;; [unrolled: 1-line block ×3, first 2 shown]
	v_sub_f32_e32 v63, v86, v89
	v_add_f32_e32 v86, v57, v88
	v_fma_f32 v25, v25, v104, -v49
	v_fma_f32 v85, v27, v106, -v85
	v_fmac_f32_e32 v92, v104, v54
	s_waitcnt vmcnt(0)
	v_mul_f32_e32 v27, v53, v109
	v_mul_f32_e32 v54, v132, v111
	;; [unrolled: 1-line block ×4, first 2 shown]
	v_fmac_f32_e32 v93, v106, v133
	v_fma_f32 v58, -0.5, v58, v84
	v_add_f32_e32 v60, v89, v59
	v_add_f32_e32 v59, v86, v91
	v_add_f32_e32 v84, v25, v85
	v_fma_f32 v91, v24, v108, -v27
	v_fma_f32 v54, v26, v110, -v54
	v_fmac_f32_e32 v87, v108, v53
	v_fmac_f32_e32 v88, v110, v132
	v_fma_f32 v57, -0.5, v62, v57
	v_add_f32_e32 v86, v56, v25
	v_mov_b32_e32 v135, v82
	v_lshlrev_b64 v[82:83], 3, v[118:119]
	v_fmamk_f32 v49, v61, 0xbf5db3d7, v30
	v_fmac_f32_e32 v30, 0x3f5db3d7, v61
	v_add_f32_e32 v61, v92, v93
	v_fma_f32 v26, -0.5, v84, v56
	v_add_f32_e32 v56, v87, v88
	v_add_f32_e32 v84, v91, v54
	v_lshlrev_b64 v[118:119], 3, v[122:123]
	v_lshlrev_b64 v[122:123], 3, v[126:127]
	v_mad_u64_u32 v[126:127], null, s2, v79, 0
	v_add_co_u32 v80, vcc_lo, v20, v80
	v_fmamk_f32 v50, v34, 0x3f5db3d7, v31
	v_fmac_f32_e32 v31, 0xbf5db3d7, v34
	v_sub_f32_e32 v34, v25, v85
	v_fmamk_f32 v25, v52, 0x3f5db3d7, v58
	v_fmac_f32_e32 v58, 0xbf5db3d7, v52
	v_fmamk_f32 v24, v63, 0xbf5db3d7, v57
	v_fmac_f32_e32 v57, 0x3f5db3d7, v63
	v_add_f32_e32 v52, v86, v85
	s_waitcnt lgkmcnt(0)
	v_add_f32_e32 v63, v87, v128
	v_add_f32_e32 v86, v55, v91
	v_add_co_ci_u32_e32 v81, vcc_lo, v21, v81, vcc_lo
	v_add_f32_e32 v62, v92, v90
	v_fma_f32 v27, -0.5, v61, v90
	v_sub_f32_e32 v61, v91, v54
	v_sub_f32_e32 v90, v87, v88
	v_fma_f32 v56, -0.5, v56, v128
	v_fma_f32 v55, -0.5, v84, v55
	v_add_co_u32 v82, vcc_lo, v20, v82
	v_add_co_ci_u32_e32 v83, vcc_lo, v21, v83, vcc_lo
	v_add_co_u32 v116, vcc_lo, v20, v116
	v_mov_b32_e32 v23, v127
	v_add_f32_e32 v85, v88, v63
	v_add_f32_e32 v84, v86, v54
	v_fmamk_f32 v87, v61, 0x3f5db3d7, v56
	v_fmac_f32_e32 v56, 0xbf5db3d7, v61
	v_fmamk_f32 v86, v90, 0xbf5db3d7, v55
	v_fmac_f32_e32 v55, 0x3f5db3d7, v90
	v_add_co_ci_u32_e32 v117, vcc_lo, v21, v117, vcc_lo
	v_add_co_u32 v118, vcc_lo, v20, v118
	global_store_dwordx2 v[80:81], v[84:85], off
	global_store_dwordx2 v[82:83], v[55:56], off
	;; [unrolled: 1-line block ×3, first 2 shown]
	v_mad_u64_u32 v[54:55], null, s3, v79, v[23:24]
	v_add_co_ci_u32_e32 v119, vcc_lo, v21, v119, vcc_lo
	v_sub_f32_e32 v89, v92, v93
	v_add_co_u32 v120, vcc_lo, v20, v120
	v_mad_u64_u32 v[22:23], null, s3, v76, v[22:23]
	v_mad_u64_u32 v[55:56], null, s2, v78, 0
	v_add_co_ci_u32_e32 v121, vcc_lo, v21, v121, vcc_lo
	v_add_co_u32 v122, vcc_lo, v20, v122
	v_add_f32_e32 v53, v93, v62
	v_fmamk_f32 v62, v34, 0x3f5db3d7, v27
	v_fmac_f32_e32 v27, 0xbf5db3d7, v34
	v_fmamk_f32 v61, v89, 0xbf5db3d7, v26
	v_fmac_f32_e32 v26, 0x3f5db3d7, v89
	v_add_co_ci_u32_e32 v123, vcc_lo, v21, v123, vcc_lo
	v_mov_b32_e32 v127, v54
	global_store_dwordx2 v[118:119], v[52:53], off
	global_store_dwordx2 v[120:121], v[26:27], off
	;; [unrolled: 1-line block ×3, first 2 shown]
	v_lshlrev_b64 v[26:27], 3, v[134:135]
	v_mov_b32_e32 v52, v22
	v_mov_b32_e32 v22, v56
	v_add_co_u32 v124, vcc_lo, v20, v124
	v_lshlrev_b64 v[53:54], 3, v[126:127]
	v_add_co_ci_u32_e32 v125, vcc_lo, v21, v125, vcc_lo
	v_mad_u64_u32 v[22:23], null, s3, v78, v[22:23]
	v_add_co_u32 v26, vcc_lo, v20, v26
	v_lshlrev_b64 v[51:52], 3, v[51:52]
	v_add_co_ci_u32_e32 v27, vcc_lo, v21, v27, vcc_lo
	v_add_co_u32 v53, vcc_lo, v20, v53
	global_store_dwordx2 v[124:125], v[59:60], off
	v_mad_u64_u32 v[59:60], null, s2, v77, 0
	v_add_co_ci_u32_e32 v54, vcc_lo, v21, v54, vcc_lo
	v_add_co_u32 v51, vcc_lo, v20, v51
	v_mov_b32_e32 v56, v22
	v_add_co_ci_u32_e32 v52, vcc_lo, v21, v52, vcc_lo
	global_store_dwordx2 v[26:27], v[57:58], off
	global_store_dwordx2 v[53:54], v[24:25], off
	;; [unrolled: 1-line block ×3, first 2 shown]
	v_lshlrev_b64 v[23:24], 3, v[55:56]
	v_mov_b32_e32 v22, v60
	v_mad_u64_u32 v[47:48], null, s2, v75, 0
	v_mad_u64_u32 v[51:52], null, s2, v74, 0
	;; [unrolled: 1-line block ×4, first 2 shown]
	v_add_co_u32 v22, vcc_lo, v20, v23
	v_add_co_ci_u32_e32 v23, vcc_lo, v21, v24, vcc_lo
	v_mov_b32_e32 v60, v25
	v_mov_b32_e32 v25, v48
	;; [unrolled: 1-line block ×3, first 2 shown]
	v_mul_hi_u32 v27, 0x51eb851f, v72
	v_lshlrev_b64 v[53:54], 3, v[59:60]
	v_mad_u64_u32 v[55:56], null, s3, v73, v[24:25]
	v_mad_u64_u32 v[24:25], null, s3, v75, v[25:26]
	v_mov_b32_e32 v25, v52
	v_add_co_u32 v52, vcc_lo, v20, v53
	v_add_co_ci_u32_e32 v53, vcc_lo, v21, v54, vcc_lo
	v_mad_u64_u32 v[56:57], null, s3, v74, v[25:26]
	v_lshrrev_b32_e32 v25, 4, v27
	v_mov_b32_e32 v27, v55
	global_store_dwordx2 v[22:23], v[30:31], off
	global_store_dwordx2 v[52:53], v[49:50], off
	v_mov_b32_e32 v48, v24
	v_mad_u32_u24 v34, 0x64, v25, v72
	v_mov_b32_e32 v52, v56
	v_lshlrev_b64 v[22:23], 3, v[26:27]
	v_lshlrev_b64 v[24:25], 3, v[47:48]
	v_mad_u64_u32 v[26:27], null, s2, v34, 0
	v_lshlrev_b64 v[30:31], 3, v[51:52]
	v_add_nc_u32_e32 v52, 50, v34
	v_add_co_u32 v22, vcc_lo, v20, v22
	v_add_co_ci_u32_e32 v23, vcc_lo, v21, v23, vcc_lo
	v_mad_u64_u32 v[47:48], null, s2, v52, 0
	v_add_co_u32 v24, vcc_lo, v20, v24
	v_add_nc_u32_e32 v54, 0x64, v34
	v_mad_u64_u32 v[49:50], null, s3, v34, v[27:28]
	v_mul_hi_u32 v34, 0x51eb851f, v71
	v_add_co_ci_u32_e32 v25, vcc_lo, v21, v25, vcc_lo
	v_add_co_u32 v30, vcc_lo, v20, v30
	v_mov_b32_e32 v27, v48
	v_add_co_ci_u32_e32 v31, vcc_lo, v21, v31, vcc_lo
	global_store_dwordx2 v[22:23], v[45:46], off
	global_store_dwordx2 v[24:25], v[43:44], off
	;; [unrolled: 1-line block ×3, first 2 shown]
	v_mad_u64_u32 v[52:53], null, s3, v52, v[27:28]
	v_lshrrev_b32_e32 v28, 4, v34
	v_mad_u64_u32 v[50:51], null, s2, v54, 0
	v_mov_b32_e32 v27, v49
	v_mad_u32_u24 v34, 0x64, v28, v71
	v_mov_b32_e32 v48, v52
	v_lshlrev_b64 v[23:24], 3, v[26:27]
	v_mov_b32_e32 v22, v51
	v_add_nc_u32_e32 v49, 50, v34
	v_mad_u64_u32 v[28:29], null, s2, v34, 0
	v_mad_u64_u32 v[25:26], null, s3, v54, v[22:23]
	v_lshlrev_b64 v[26:27], 3, v[47:48]
	v_mad_u64_u32 v[30:31], null, s2, v49, 0
	v_add_co_u32 v22, vcc_lo, v20, v23
	v_add_co_ci_u32_e32 v23, vcc_lo, v21, v24, vcc_lo
	v_add_co_u32 v24, vcc_lo, v20, v26
	v_mov_b32_e32 v51, v25
	v_add_co_ci_u32_e32 v25, vcc_lo, v21, v27, vcc_lo
	v_mov_b32_e32 v26, v29
	v_mov_b32_e32 v27, v31
	v_add_nc_u32_e32 v48, 0x64, v34
	global_store_dwordx2 v[22:23], v[39:40], off
	global_store_dwordx2 v[24:25], v[37:38], off
	v_lshlrev_b64 v[43:44], 3, v[50:51]
	v_mad_u64_u32 v[45:46], null, s3, v34, v[26:27]
	v_mad_u64_u32 v[46:47], null, s2, v48, 0
	;; [unrolled: 1-line block ×3, first 2 shown]
	v_add_co_u32 v43, vcc_lo, v20, v43
	v_mov_b32_e32 v29, v45
	v_add_co_ci_u32_e32 v44, vcc_lo, v21, v44, vcc_lo
	v_mov_b32_e32 v22, v47
	v_mov_b32_e32 v31, v26
	v_lshlrev_b64 v[23:24], 3, v[28:29]
	global_store_dwordx2 v[43:44], v[41:42], off
	v_lshlrev_b64 v[28:29], 3, v[30:31]
	v_mad_u64_u32 v[30:31], null, s2, v69, 0
	v_mad_u64_u32 v[25:26], null, s3, v48, v[22:23]
	v_add_co_u32 v22, vcc_lo, v20, v23
	v_mad_u64_u32 v[26:27], null, s2, v68, 0
	v_add_co_ci_u32_e32 v23, vcc_lo, v21, v24, vcc_lo
	v_mov_b32_e32 v47, v25
	v_mad_u64_u32 v[24:25], null, s2, v70, 0
	v_add_co_u32 v28, vcc_lo, v20, v28
	v_add_co_ci_u32_e32 v29, vcc_lo, v21, v29, vcc_lo
	v_lshlrev_b64 v[37:38], 3, v[46:47]
	v_mad_u64_u32 v[39:40], null, s3, v68, v[27:28]
	v_mad_u64_u32 v[40:41], null, s3, v70, v[25:26]
	v_mov_b32_e32 v25, v31
	global_store_dwordx2 v[22:23], v[35:36], off
	global_store_dwordx2 v[28:29], v[14:15], off
	v_add_co_u32 v37, vcc_lo, v20, v37
	v_mov_b32_e32 v27, v39
	v_mad_u64_u32 v[41:42], null, s3, v69, v[25:26]
	v_mad_u64_u32 v[42:43], null, s2, v65, 0
	v_mov_b32_e32 v25, v40
	v_lshlrev_b64 v[14:15], 3, v[26:27]
	v_add_co_ci_u32_e32 v38, vcc_lo, v21, v38, vcc_lo
	v_mov_b32_e32 v31, v41
	v_lshlrev_b64 v[22:23], 3, v[24:25]
	v_mov_b32_e32 v24, v43
	v_add_co_u32 v14, vcc_lo, v20, v14
	v_lshlrev_b64 v[25:26], 3, v[30:31]
	v_add_co_ci_u32_e32 v15, vcc_lo, v21, v15, vcc_lo
	v_add_co_u32 v22, vcc_lo, v20, v22
	v_add_co_ci_u32_e32 v23, vcc_lo, v21, v23, vcc_lo
	v_mad_u64_u32 v[27:28], null, s3, v65, v[24:25]
	v_mul_hi_u32 v28, 0x51eb851f, v64
	v_add_co_u32 v24, vcc_lo, v20, v25
	v_add_co_ci_u32_e32 v25, vcc_lo, v21, v26, vcc_lo
	global_store_dwordx2 v[37:38], v[32:33], off
	v_mov_b32_e32 v43, v27
	v_mad_u64_u32 v[26:27], null, s2, v67, 0
	v_lshrrev_b32_e32 v28, 4, v28
	global_store_dwordx2 v[14:15], v[18:19], off
	global_store_dwordx2 v[22:23], v[10:11], off
	global_store_dwordx2 v[24:25], v[12:13], off
	v_mad_u64_u32 v[12:13], null, s2, v66, 0
	v_lshlrev_b64 v[10:11], 3, v[42:43]
	v_mad_u32_u24 v25, 0x64, v28, v64
	v_mov_b32_e32 v14, v27
	v_mad_u64_u32 v[18:19], null, s2, v25, 0
	v_mad_u64_u32 v[14:15], null, s3, v67, v[14:15]
	v_add_nc_u32_e32 v30, 50, v25
	v_add_co_u32 v10, vcc_lo, v20, v10
	v_add_nc_u32_e32 v31, 0x64, v25
	v_add_co_ci_u32_e32 v11, vcc_lo, v21, v11, vcc_lo
	v_mad_u64_u32 v[22:23], null, s3, v66, v[13:14]
	v_mad_u64_u32 v[23:24], null, s2, v30, 0
	v_mov_b32_e32 v13, v19
	v_mov_b32_e32 v27, v14
	global_store_dwordx2 v[10:11], v[16:17], off
	v_mad_u64_u32 v[28:29], null, s3, v25, v[13:14]
	v_mad_u64_u32 v[14:15], null, s2, v31, 0
	v_mov_b32_e32 v10, v24
	v_mov_b32_e32 v13, v22
	v_lshlrev_b64 v[16:17], 3, v[26:27]
	v_mov_b32_e32 v19, v28
	v_mad_u64_u32 v[10:11], null, s3, v30, v[10:11]
	v_lshlrev_b64 v[12:13], 3, v[12:13]
	v_mov_b32_e32 v11, v15
	v_add_co_u32 v16, vcc_lo, v20, v16
	v_add_co_ci_u32_e32 v17, vcc_lo, v21, v17, vcc_lo
	v_mad_u64_u32 v[25:26], null, s3, v31, v[11:12]
	v_mov_b32_e32 v24, v10
	v_lshlrev_b64 v[18:19], 3, v[18:19]
	v_add_co_u32 v10, vcc_lo, v20, v12
	v_add_co_ci_u32_e32 v11, vcc_lo, v21, v13, vcc_lo
	v_mov_b32_e32 v15, v25
	v_lshlrev_b64 v[12:13], 3, v[23:24]
	v_add_co_u32 v18, vcc_lo, v20, v18
	v_add_co_ci_u32_e32 v19, vcc_lo, v21, v19, vcc_lo
	v_lshlrev_b64 v[14:15], 3, v[14:15]
	v_add_co_u32 v12, vcc_lo, v20, v12
	v_add_co_ci_u32_e32 v13, vcc_lo, v21, v13, vcc_lo
	v_add_co_u32 v14, vcc_lo, v20, v14
	v_add_co_ci_u32_e32 v15, vcc_lo, v21, v15, vcc_lo
	global_store_dwordx2 v[16:17], v[6:7], off
	global_store_dwordx2 v[10:11], v[8:9], off
	;; [unrolled: 1-line block ×5, first 2 shown]
.LBB0_14:
	s_endpgm
	.section	.rodata,"a",@progbits
	.p2align	6, 0x0
	.amdhsa_kernel fft_rtc_fwd_len150_factors_10_5_3_wgs_60_tpt_5_halfLds_sp_ip_CI_sbrr_dirReg
		.amdhsa_group_segment_fixed_size 0
		.amdhsa_private_segment_fixed_size 0
		.amdhsa_kernarg_size 88
		.amdhsa_user_sgpr_count 6
		.amdhsa_user_sgpr_private_segment_buffer 1
		.amdhsa_user_sgpr_dispatch_ptr 0
		.amdhsa_user_sgpr_queue_ptr 0
		.amdhsa_user_sgpr_kernarg_segment_ptr 1
		.amdhsa_user_sgpr_dispatch_id 0
		.amdhsa_user_sgpr_flat_scratch_init 0
		.amdhsa_user_sgpr_private_segment_size 0
		.amdhsa_wavefront_size32 1
		.amdhsa_uses_dynamic_stack 0
		.amdhsa_system_sgpr_private_segment_wavefront_offset 0
		.amdhsa_system_sgpr_workgroup_id_x 1
		.amdhsa_system_sgpr_workgroup_id_y 0
		.amdhsa_system_sgpr_workgroup_id_z 0
		.amdhsa_system_sgpr_workgroup_info 0
		.amdhsa_system_vgpr_workitem_id 0
		.amdhsa_next_free_vgpr 142
		.amdhsa_next_free_sgpr 23
		.amdhsa_reserve_vcc 1
		.amdhsa_reserve_flat_scratch 0
		.amdhsa_float_round_mode_32 0
		.amdhsa_float_round_mode_16_64 0
		.amdhsa_float_denorm_mode_32 3
		.amdhsa_float_denorm_mode_16_64 3
		.amdhsa_dx10_clamp 1
		.amdhsa_ieee_mode 1
		.amdhsa_fp16_overflow 0
		.amdhsa_workgroup_processor_mode 1
		.amdhsa_memory_ordered 1
		.amdhsa_forward_progress 0
		.amdhsa_shared_vgpr_count 0
		.amdhsa_exception_fp_ieee_invalid_op 0
		.amdhsa_exception_fp_denorm_src 0
		.amdhsa_exception_fp_ieee_div_zero 0
		.amdhsa_exception_fp_ieee_overflow 0
		.amdhsa_exception_fp_ieee_underflow 0
		.amdhsa_exception_fp_ieee_inexact 0
		.amdhsa_exception_int_div_zero 0
	.end_amdhsa_kernel
	.text
.Lfunc_end0:
	.size	fft_rtc_fwd_len150_factors_10_5_3_wgs_60_tpt_5_halfLds_sp_ip_CI_sbrr_dirReg, .Lfunc_end0-fft_rtc_fwd_len150_factors_10_5_3_wgs_60_tpt_5_halfLds_sp_ip_CI_sbrr_dirReg
                                        ; -- End function
	.section	.AMDGPU.csdata,"",@progbits
; Kernel info:
; codeLenInByte = 13216
; NumSgprs: 25
; NumVgprs: 142
; ScratchSize: 0
; MemoryBound: 0
; FloatMode: 240
; IeeeMode: 1
; LDSByteSize: 0 bytes/workgroup (compile time only)
; SGPRBlocks: 3
; VGPRBlocks: 17
; NumSGPRsForWavesPerEU: 25
; NumVGPRsForWavesPerEU: 142
; Occupancy: 7
; WaveLimiterHint : 1
; COMPUTE_PGM_RSRC2:SCRATCH_EN: 0
; COMPUTE_PGM_RSRC2:USER_SGPR: 6
; COMPUTE_PGM_RSRC2:TRAP_HANDLER: 0
; COMPUTE_PGM_RSRC2:TGID_X_EN: 1
; COMPUTE_PGM_RSRC2:TGID_Y_EN: 0
; COMPUTE_PGM_RSRC2:TGID_Z_EN: 0
; COMPUTE_PGM_RSRC2:TIDIG_COMP_CNT: 0
	.text
	.p2alignl 6, 3214868480
	.fill 48, 4, 3214868480
	.type	__hip_cuid_13e38d5fc17d0638,@object ; @__hip_cuid_13e38d5fc17d0638
	.section	.bss,"aw",@nobits
	.globl	__hip_cuid_13e38d5fc17d0638
__hip_cuid_13e38d5fc17d0638:
	.byte	0                               ; 0x0
	.size	__hip_cuid_13e38d5fc17d0638, 1

	.ident	"AMD clang version 19.0.0git (https://github.com/RadeonOpenCompute/llvm-project roc-6.4.0 25133 c7fe45cf4b819c5991fe208aaa96edf142730f1d)"
	.section	".note.GNU-stack","",@progbits
	.addrsig
	.addrsig_sym __hip_cuid_13e38d5fc17d0638
	.amdgpu_metadata
---
amdhsa.kernels:
  - .args:
      - .actual_access:  read_only
        .address_space:  global
        .offset:         0
        .size:           8
        .value_kind:     global_buffer
      - .offset:         8
        .size:           8
        .value_kind:     by_value
      - .actual_access:  read_only
        .address_space:  global
        .offset:         16
        .size:           8
        .value_kind:     global_buffer
      - .actual_access:  read_only
        .address_space:  global
        .offset:         24
        .size:           8
        .value_kind:     global_buffer
      - .offset:         32
        .size:           8
        .value_kind:     by_value
      - .actual_access:  read_only
        .address_space:  global
        .offset:         40
        .size:           8
        .value_kind:     global_buffer
      - .actual_access:  read_only
        .address_space:  global
        .offset:         48
        .size:           8
        .value_kind:     global_buffer
      - .offset:         56
        .size:           4
        .value_kind:     by_value
      - .actual_access:  read_only
        .address_space:  global
        .offset:         64
        .size:           8
        .value_kind:     global_buffer
      - .actual_access:  read_only
        .address_space:  global
        .offset:         72
        .size:           8
        .value_kind:     global_buffer
      - .address_space:  global
        .offset:         80
        .size:           8
        .value_kind:     global_buffer
    .group_segment_fixed_size: 0
    .kernarg_segment_align: 8
    .kernarg_segment_size: 88
    .language:       OpenCL C
    .language_version:
      - 2
      - 0
    .max_flat_workgroup_size: 60
    .name:           fft_rtc_fwd_len150_factors_10_5_3_wgs_60_tpt_5_halfLds_sp_ip_CI_sbrr_dirReg
    .private_segment_fixed_size: 0
    .sgpr_count:     25
    .sgpr_spill_count: 0
    .symbol:         fft_rtc_fwd_len150_factors_10_5_3_wgs_60_tpt_5_halfLds_sp_ip_CI_sbrr_dirReg.kd
    .uniform_work_group_size: 1
    .uses_dynamic_stack: false
    .vgpr_count:     142
    .vgpr_spill_count: 0
    .wavefront_size: 32
    .workgroup_processor_mode: 1
amdhsa.target:   amdgcn-amd-amdhsa--gfx1030
amdhsa.version:
  - 1
  - 2
...

	.end_amdgpu_metadata
